;; amdgpu-corpus repo=zjin-lcf/HeCBench kind=compiled arch=gfx906 opt=O3
	.amdgcn_target "amdgcn-amd-amdhsa--gfx906"
	.amdhsa_code_object_version 6
	.text
	.protected	_Z10comm_emptyP15HIP_vector_typeIfLj2EES1_S1_ ; -- Begin function _Z10comm_emptyP15HIP_vector_typeIfLj2EES1_S1_
	.globl	_Z10comm_emptyP15HIP_vector_typeIfLj2EES1_S1_
	.p2align	8
	.type	_Z10comm_emptyP15HIP_vector_typeIfLj2EES1_S1_,@function
_Z10comm_emptyP15HIP_vector_typeIfLj2EES1_S1_: ; @_Z10comm_emptyP15HIP_vector_typeIfLj2EES1_S1_
; %bb.0:
	s_endpgm
	.section	.rodata,"a",@progbits
	.p2align	6, 0x0
	.amdhsa_kernel _Z10comm_emptyP15HIP_vector_typeIfLj2EES1_S1_
		.amdhsa_group_segment_fixed_size 0
		.amdhsa_private_segment_fixed_size 0
		.amdhsa_kernarg_size 24
		.amdhsa_user_sgpr_count 6
		.amdhsa_user_sgpr_private_segment_buffer 1
		.amdhsa_user_sgpr_dispatch_ptr 0
		.amdhsa_user_sgpr_queue_ptr 0
		.amdhsa_user_sgpr_kernarg_segment_ptr 1
		.amdhsa_user_sgpr_dispatch_id 0
		.amdhsa_user_sgpr_flat_scratch_init 0
		.amdhsa_user_sgpr_private_segment_size 0
		.amdhsa_uses_dynamic_stack 0
		.amdhsa_system_sgpr_private_segment_wavefront_offset 0
		.amdhsa_system_sgpr_workgroup_id_x 1
		.amdhsa_system_sgpr_workgroup_id_y 0
		.amdhsa_system_sgpr_workgroup_id_z 0
		.amdhsa_system_sgpr_workgroup_info 0
		.amdhsa_system_vgpr_workitem_id 0
		.amdhsa_next_free_vgpr 1
		.amdhsa_next_free_sgpr 0
		.amdhsa_reserve_vcc 0
		.amdhsa_reserve_flat_scratch 0
		.amdhsa_float_round_mode_32 0
		.amdhsa_float_round_mode_16_64 0
		.amdhsa_float_denorm_mode_32 3
		.amdhsa_float_denorm_mode_16_64 3
		.amdhsa_dx10_clamp 1
		.amdhsa_ieee_mode 1
		.amdhsa_fp16_overflow 0
		.amdhsa_exception_fp_ieee_invalid_op 0
		.amdhsa_exception_fp_denorm_src 0
		.amdhsa_exception_fp_ieee_div_zero 0
		.amdhsa_exception_fp_ieee_overflow 0
		.amdhsa_exception_fp_ieee_underflow 0
		.amdhsa_exception_fp_ieee_inexact 0
		.amdhsa_exception_int_div_zero 0
	.end_amdhsa_kernel
	.text
.Lfunc_end0:
	.size	_Z10comm_emptyP15HIP_vector_typeIfLj2EES1_S1_, .Lfunc_end0-_Z10comm_emptyP15HIP_vector_typeIfLj2EES1_S1_
                                        ; -- End function
	.set _Z10comm_emptyP15HIP_vector_typeIfLj2EES1_S1_.num_vgpr, 0
	.set _Z10comm_emptyP15HIP_vector_typeIfLj2EES1_S1_.num_agpr, 0
	.set _Z10comm_emptyP15HIP_vector_typeIfLj2EES1_S1_.numbered_sgpr, 0
	.set _Z10comm_emptyP15HIP_vector_typeIfLj2EES1_S1_.num_named_barrier, 0
	.set _Z10comm_emptyP15HIP_vector_typeIfLj2EES1_S1_.private_seg_size, 0
	.set _Z10comm_emptyP15HIP_vector_typeIfLj2EES1_S1_.uses_vcc, 0
	.set _Z10comm_emptyP15HIP_vector_typeIfLj2EES1_S1_.uses_flat_scratch, 0
	.set _Z10comm_emptyP15HIP_vector_typeIfLj2EES1_S1_.has_dyn_sized_stack, 0
	.set _Z10comm_emptyP15HIP_vector_typeIfLj2EES1_S1_.has_recursion, 0
	.set _Z10comm_emptyP15HIP_vector_typeIfLj2EES1_S1_.has_indirect_call, 0
	.section	.AMDGPU.csdata,"",@progbits
; Kernel info:
; codeLenInByte = 4
; TotalNumSgprs: 4
; NumVgprs: 0
; ScratchSize: 0
; MemoryBound: 0
; FloatMode: 240
; IeeeMode: 1
; LDSByteSize: 0 bytes/workgroup (compile time only)
; SGPRBlocks: 0
; VGPRBlocks: 0
; NumSGPRsForWavesPerEU: 4
; NumVGPRsForWavesPerEU: 1
; Occupancy: 10
; WaveLimiterHint : 0
; COMPUTE_PGM_RSRC2:SCRATCH_EN: 0
; COMPUTE_PGM_RSRC2:USER_SGPR: 6
; COMPUTE_PGM_RSRC2:TRAP_HANDLER: 0
; COMPUTE_PGM_RSRC2:TGID_X_EN: 1
; COMPUTE_PGM_RSRC2:TGID_Y_EN: 0
; COMPUTE_PGM_RSRC2:TGID_Z_EN: 0
; COMPUTE_PGM_RSRC2:TIDIG_COMP_CNT: 0
	.text
	.protected	_Z9comm_initPK15HIP_vector_typeIfLj2EEPS0_S2_i ; -- Begin function _Z9comm_initPK15HIP_vector_typeIfLj2EEPS0_S2_i
	.globl	_Z9comm_initPK15HIP_vector_typeIfLj2EEPS0_S2_i
	.p2align	8
	.type	_Z9comm_initPK15HIP_vector_typeIfLj2EEPS0_S2_i,@function
_Z9comm_initPK15HIP_vector_typeIfLj2EEPS0_S2_i: ; @_Z9comm_initPK15HIP_vector_typeIfLj2EEPS0_S2_i
; %bb.0:
	s_load_dword s8, s[4:5], 0x18
	s_waitcnt lgkmcnt(0)
	s_cmp_lt_i32 s8, 1
	s_cbranch_scc1 .LBB1_7
; %bb.1:
	v_sqrt_f32_e32 v1, 0
	s_mov_b32 s12, 0x3a83126f
	s_mov_b32 s9, 0
	v_fmac_f32_e32 v1, 0, v1
	v_add_f32_e32 v1, v1, v1
	v_sub_f32_e32 v1, 0x40490fdb, v1
	v_div_scale_f32 v2, s[0:1], v1, v1, 1.0
	v_div_scale_f32 v3, vcc, 1.0, v1, 1.0
	v_rcp_f32_e32 v4, v2
	v_fma_f32 v5, -v2, v4, 1.0
	v_fmac_f32_e32 v4, v5, v4
	v_mul_f32_e32 v5, v3, v4
	v_fma_f32 v6, -v2, v5, v3
	v_fmac_f32_e32 v5, v6, v4
	v_fma_f32 v2, -v2, v5, v3
	v_div_fmas_f32 v2, v2, v4, v5
	v_div_fixup_f32 v1, v2, v1, 1.0
	v_div_scale_f32 v2, s[0:1], v1, v1, s12
	v_div_scale_f32 v3, vcc, s12, v1, s12
	s_load_dword s7, s[4:5], 0x2c
	s_load_dwordx4 s[0:3], s[4:5], 0x0
	s_load_dwordx2 s[10:11], s[4:5], 0x10
	s_waitcnt lgkmcnt(0)
	s_and_b32 s4, s7, 0xffff
	s_mul_i32 s6, s6, s4
	v_add_u32_e32 v0, s6, v0
	s_add_u32 s4, s10, 4
	s_addc_u32 s5, s11, 0
	s_lshl_b64 s[6:7], s[8:9], 3
	s_mov_b64 s[10:11], s[4:5]
	v_rcp_f32_e32 v4, v2
	v_fma_f32 v5, -v2, v4, 1.0
	v_fmac_f32_e32 v4, v5, v4
	v_mul_f32_e32 v5, v3, v4
	v_fma_f32 v6, -v2, v5, v3
	v_fmac_f32_e32 v5, v6, v4
	v_fma_f32 v2, -v2, v5, v3
	v_div_fmas_f32 v5, v2, v4, v5
	v_mul_lo_u32 v2, v0, s8
	v_mov_b32_e32 v3, s1
	v_mul_lo_u32 v4, v2, s8
	v_mov_b32_e32 v6, v4
	v_div_fixup_f32 v5, v5, v1, s12
.LBB1_2:                                ; =>This Loop Header: Depth=1
                                        ;     Child Loop BB1_3 Depth 2
                                        ;       Child Loop BB1_4 Depth 3
	v_add_u32_e32 v0, s9, v2
	v_mul_lo_u32 v7, v0, s8
	s_mov_b64 s[12:13], s[4:5]
	v_mov_b32_e32 v8, v4
	s_mov_b32 s1, 0
.LBB1_3:                                ;   Parent Loop BB1_2 Depth=1
                                        ; =>  This Loop Header: Depth=2
                                        ;       Child Loop BB1_4 Depth 3
	v_mov_b32_e32 v9, 0
	s_mov_b32 s18, 0
	s_mov_b64 s[14:15], s[10:11]
	s_mov_b64 s[16:17], s[12:13]
	v_mov_b32_e32 v0, v8
	v_mov_b32_e32 v10, 0
.LBB1_4:                                ;   Parent Loop BB1_2 Depth=1
                                        ;     Parent Loop BB1_3 Depth=2
                                        ; =>    This Inner Loop Header: Depth=3
	v_ashrrev_i32_e32 v1, 31, v0
	v_add_u32_e32 v11, s18, v6
	v_lshlrev_b64 v[13:14], 3, v[0:1]
	v_ashrrev_i32_e32 v12, 31, v11
	v_lshlrev_b64 v[11:12], 3, v[11:12]
	v_add_co_u32_e32 v13, vcc, s0, v13
	v_addc_co_u32_e32 v14, vcc, v3, v14, vcc
	v_add_co_u32_e32 v11, vcc, s0, v11
	v_addc_co_u32_e32 v12, vcc, v3, v12, vcc
	global_load_dwordx2 v[15:16], v[13:14], off
	global_load_dwordx2 v[17:18], v[11:12], off
	s_add_u32 s20, s14, -4
	s_addc_u32 s21, s15, -1
	s_add_u32 s22, s16, -4
	s_addc_u32 s23, s17, -1
	s_load_dwordx2 s[22:23], s[22:23], 0x0
	s_add_i32 s18, s18, 1
	s_load_dwordx2 s[20:21], s[20:21], 0x0
	s_add_u32 s16, s16, s6
	s_addc_u32 s17, s17, s7
	s_add_u32 s14, s14, 8
	s_addc_u32 s15, s15, 0
	v_add_u32_e32 v0, s8, v0
	s_cmp_eq_u32 s8, s18
	s_waitcnt vmcnt(0) lgkmcnt(0)
	v_mul_f32_e32 v1, s22, v17
	v_mul_f32_e32 v12, s23, v17
	;; [unrolled: 1-line block ×4, first 2 shown]
	v_fma_f32 v1, s20, v15, -v1
	v_fma_f32 v12, s20, v16, -v12
	;; [unrolled: 1-line block ×4, first 2 shown]
	v_add_f32_e32 v1, v9, v1
	v_add_f32_e32 v10, v10, v12
	v_sub_f32_e32 v9, v1, v11
	v_add_f32_e32 v10, v13, v10
	s_cbranch_scc0 .LBB1_4
; %bb.5:                                ;   in Loop: Header=BB1_3 Depth=2
	v_add_u32_e32 v0, s1, v7
	v_ashrrev_i32_e32 v1, 31, v0
	v_lshlrev_b64 v[0:1], 3, v[0:1]
	v_mov_b32_e32 v11, s3
	v_add_co_u32_e32 v0, vcc, s2, v0
	v_addc_co_u32_e32 v1, vcc, v11, v1, vcc
	global_load_dwordx2 v[11:12], v[0:1], off
	s_add_i32 s1, s1, 1
	s_add_u32 s12, s12, 8
	s_addc_u32 s13, s13, 0
	s_cmp_eq_u32 s1, s8
	v_add_u32_e32 v8, 1, v8
	s_waitcnt vmcnt(0)
	v_fma_f32 v12, -v5, v9, v12
	v_fmac_f32_e32 v11, v5, v10
	global_store_dwordx2 v[0:1], v[11:12], off
	s_cbranch_scc0 .LBB1_3
; %bb.6:                                ;   in Loop: Header=BB1_2 Depth=1
	s_add_i32 s9, s9, 1
	s_add_u32 s10, s10, s6
	s_addc_u32 s11, s11, s7
	s_cmp_eq_u32 s9, s8
	v_add_u32_e32 v6, s8, v6
	s_cbranch_scc0 .LBB1_2
.LBB1_7:
	s_endpgm
	.section	.rodata,"a",@progbits
	.p2align	6, 0x0
	.amdhsa_kernel _Z9comm_initPK15HIP_vector_typeIfLj2EEPS0_S2_i
		.amdhsa_group_segment_fixed_size 0
		.amdhsa_private_segment_fixed_size 0
		.amdhsa_kernarg_size 288
		.amdhsa_user_sgpr_count 6
		.amdhsa_user_sgpr_private_segment_buffer 1
		.amdhsa_user_sgpr_dispatch_ptr 0
		.amdhsa_user_sgpr_queue_ptr 0
		.amdhsa_user_sgpr_kernarg_segment_ptr 1
		.amdhsa_user_sgpr_dispatch_id 0
		.amdhsa_user_sgpr_flat_scratch_init 0
		.amdhsa_user_sgpr_private_segment_size 0
		.amdhsa_uses_dynamic_stack 0
		.amdhsa_system_sgpr_private_segment_wavefront_offset 0
		.amdhsa_system_sgpr_workgroup_id_x 1
		.amdhsa_system_sgpr_workgroup_id_y 0
		.amdhsa_system_sgpr_workgroup_id_z 0
		.amdhsa_system_sgpr_workgroup_info 0
		.amdhsa_system_vgpr_workitem_id 0
		.amdhsa_next_free_vgpr 19
		.amdhsa_next_free_sgpr 24
		.amdhsa_reserve_vcc 1
		.amdhsa_reserve_flat_scratch 0
		.amdhsa_float_round_mode_32 0
		.amdhsa_float_round_mode_16_64 0
		.amdhsa_float_denorm_mode_32 3
		.amdhsa_float_denorm_mode_16_64 3
		.amdhsa_dx10_clamp 1
		.amdhsa_ieee_mode 1
		.amdhsa_fp16_overflow 0
		.amdhsa_exception_fp_ieee_invalid_op 0
		.amdhsa_exception_fp_denorm_src 0
		.amdhsa_exception_fp_ieee_div_zero 0
		.amdhsa_exception_fp_ieee_overflow 0
		.amdhsa_exception_fp_ieee_underflow 0
		.amdhsa_exception_fp_ieee_inexact 0
		.amdhsa_exception_int_div_zero 0
	.end_amdhsa_kernel
	.text
.Lfunc_end1:
	.size	_Z9comm_initPK15HIP_vector_typeIfLj2EEPS0_S2_i, .Lfunc_end1-_Z9comm_initPK15HIP_vector_typeIfLj2EEPS0_S2_i
                                        ; -- End function
	.set _Z9comm_initPK15HIP_vector_typeIfLj2EEPS0_S2_i.num_vgpr, 19
	.set _Z9comm_initPK15HIP_vector_typeIfLj2EEPS0_S2_i.num_agpr, 0
	.set _Z9comm_initPK15HIP_vector_typeIfLj2EEPS0_S2_i.numbered_sgpr, 24
	.set _Z9comm_initPK15HIP_vector_typeIfLj2EEPS0_S2_i.num_named_barrier, 0
	.set _Z9comm_initPK15HIP_vector_typeIfLj2EEPS0_S2_i.private_seg_size, 0
	.set _Z9comm_initPK15HIP_vector_typeIfLj2EEPS0_S2_i.uses_vcc, 1
	.set _Z9comm_initPK15HIP_vector_typeIfLj2EEPS0_S2_i.uses_flat_scratch, 0
	.set _Z9comm_initPK15HIP_vector_typeIfLj2EEPS0_S2_i.has_dyn_sized_stack, 0
	.set _Z9comm_initPK15HIP_vector_typeIfLj2EEPS0_S2_i.has_recursion, 0
	.set _Z9comm_initPK15HIP_vector_typeIfLj2EEPS0_S2_i.has_indirect_call, 0
	.section	.AMDGPU.csdata,"",@progbits
; Kernel info:
; codeLenInByte = 632
; TotalNumSgprs: 28
; NumVgprs: 19
; ScratchSize: 0
; MemoryBound: 0
; FloatMode: 240
; IeeeMode: 1
; LDSByteSize: 0 bytes/workgroup (compile time only)
; SGPRBlocks: 3
; VGPRBlocks: 4
; NumSGPRsForWavesPerEU: 28
; NumVGPRsForWavesPerEU: 19
; Occupancy: 10
; WaveLimiterHint : 0
; COMPUTE_PGM_RSRC2:SCRATCH_EN: 0
; COMPUTE_PGM_RSRC2:USER_SGPR: 6
; COMPUTE_PGM_RSRC2:TRAP_HANDLER: 0
; COMPUTE_PGM_RSRC2:TGID_X_EN: 1
; COMPUTE_PGM_RSRC2:TGID_Y_EN: 0
; COMPUTE_PGM_RSRC2:TGID_Z_EN: 0
; COMPUTE_PGM_RSRC2:TIDIG_COMP_CNT: 0
	.text
	.protected	_Z13comm_refactorPK15HIP_vector_typeIfLj2EEPS0_S2_i ; -- Begin function _Z13comm_refactorPK15HIP_vector_typeIfLj2EEPS0_S2_i
	.globl	_Z13comm_refactorPK15HIP_vector_typeIfLj2EEPS0_S2_i
	.p2align	8
	.type	_Z13comm_refactorPK15HIP_vector_typeIfLj2EEPS0_S2_i,@function
_Z13comm_refactorPK15HIP_vector_typeIfLj2EEPS0_S2_i: ; @_Z13comm_refactorPK15HIP_vector_typeIfLj2EEPS0_S2_i
; %bb.0:
	s_load_dword s24, s[4:5], 0x18
	s_waitcnt lgkmcnt(0)
	s_cmp_lt_i32 s24, 1
	s_cbranch_scc1 .LBB2_7
; %bb.1:
	v_sqrt_f32_e32 v1, 0
	s_mov_b32 s13, 0x3a83126f
	s_lshl_b32 s10, s24, 1
	s_add_i32 s25, s10, 2
	v_fmac_f32_e32 v1, 0, v1
	v_add_f32_e32 v1, v1, v1
	v_sub_f32_e32 v1, 0x40490fdb, v1
	v_div_scale_f32 v2, s[0:1], v1, v1, 1.0
	v_div_scale_f32 v3, vcc, 1.0, v1, 1.0
	s_mov_b32 s28, 0
	v_rcp_f32_e32 v4, v2
	v_fma_f32 v5, -v2, v4, 1.0
	v_fmac_f32_e32 v4, v5, v4
	v_mul_f32_e32 v5, v3, v4
	v_fma_f32 v6, -v2, v5, v3
	v_fmac_f32_e32 v5, v6, v4
	v_fma_f32 v2, -v2, v5, v3
	v_div_fmas_f32 v2, v2, v4, v5
	v_div_fixup_f32 v1, v2, v1, 1.0
	v_div_scale_f32 v2, s[0:1], v1, v1, s13
	v_div_scale_f32 v3, vcc, s13, v1, s13
	s_load_dwordx4 s[0:3], s[4:5], 0x0
	s_load_dwordx2 s[8:9], s[4:5], 0x10
	s_load_dword s7, s[4:5], 0x2c
	s_mov_b32 s5, 0
	s_mul_i32 s4, s24, s24
	s_mov_b32 s11, s5
	s_lshl_b64 s[14:15], s[10:11], 2
	s_waitcnt lgkmcnt(0)
	s_and_b32 s7, s7, 0xffff
	s_mul_i32 s6, s6, s7
	v_add_u32_e32 v0, s6, v0
	v_mul_lo_u32 v8, s4, v0
	s_add_u32 s26, s0, 4
	s_addc_u32 s0, s1, 0
	s_ashr_i32 s11, s10, 31
	v_rcp_f32_e32 v4, v2
	s_lshl_b64 s[6:7], s[10:11], 2
	s_add_u32 s11, s8, 4
	v_lshlrev_b32_e32 v10, 1, v8
	v_fma_f32 v5, -v2, v4, 1.0
	v_fmac_f32_e32 v4, v5, v4
	v_mul_f32_e32 v5, v3, v4
	v_fma_f32 v6, -v2, v5, v3
	v_fmac_f32_e32 v5, v6, v4
	v_fma_f32 v2, -v2, v5, v3
	v_div_fmas_f32 v2, v2, v4, v5
	s_mov_b32 s12, s5
	v_mov_b32_e32 v9, s0
	s_addc_u32 s27, s9, 0
	v_mov_b32_e32 v0, v10
	v_div_fixup_f32 v11, v2, v1, s13
.LBB2_2:                                ; =>This Loop Header: Depth=1
                                        ;     Child Loop BB2_3 Depth 2
                                        ;       Child Loop BB2_4 Depth 3
	v_ashrrev_i32_e32 v1, 31, v0
	s_mov_b32 s13, s5
	v_lshlrev_b64 v[1:2], 2, v[0:1]
	s_lshl_b64 s[0:1], s[12:13], 2
	s_add_u32 s16, s11, s0
	v_add_co_u32_e32 v1, vcc, s26, v1
	s_mul_i32 s0, s28, s24
	s_addc_u32 s17, s27, s1
	v_addc_co_u32_e32 v2, vcc, v9, v2, vcc
	v_add_u32_e32 v12, s0, v8
	v_mov_b32_e32 v3, v10
	s_mov_b64 s[18:19], s[8:9]
.LBB2_3:                                ;   Parent Loop BB2_2 Depth=1
                                        ; =>  This Loop Header: Depth=2
                                        ;       Child Loop BB2_4 Depth 3
	v_ashrrev_i32_e32 v4, 31, v3
	v_lshlrev_b64 v[4:5], 2, v[3:4]
	s_mov_b32 s4, 0
	v_add_co_u32_e32 v4, vcc, s26, v4
	v_mov_b32_e32 v7, v2
	v_addc_co_u32_e32 v5, vcc, v9, v5, vcc
	v_mov_b32_e32 v13, 0
	v_mov_b32_e32 v6, v1
	s_mov_b64 s[20:21], s[16:17]
	s_mov_b64 s[22:23], s[18:19]
	s_mov_b32 s29, s4
	v_mov_b32_e32 v14, 0
.LBB2_4:                                ;   Parent Loop BB2_2 Depth=1
                                        ;     Parent Loop BB2_3 Depth=2
                                        ; =>    This Inner Loop Header: Depth=3
	global_load_dwordx2 v[15:16], v[4:5], off offset:-4
	global_load_dwordx2 v[17:18], v[6:7], off offset:-4
	v_add_co_u32_e64 v6, s[0:1], 8, v6
	s_add_u32 s30, s20, -4
	v_addc_co_u32_e64 v7, s[0:1], 0, v7, s[0:1]
	s_addc_u32 s31, s21, -1
	s_lshl_b64 s[0:1], s[4:5], 2
	s_add_u32 s0, s8, s0
	s_load_dwordx2 s[34:35], s[30:31], 0x0
	s_addc_u32 s1, s9, s1
	s_load_dword s33, s[22:23], 0x0
	s_add_i32 s29, s29, 1
	s_load_dword s0, s[0:1], 0x4
	s_add_i32 s4, s4, s25
	s_add_u32 s22, s22, s14
	s_addc_u32 s23, s23, s15
	s_add_u32 s20, s20, 8
	v_mov_b32_e32 v19, s7
	v_add_co_u32_e32 v4, vcc, s6, v4
	s_addc_u32 s21, s21, 0
	v_addc_co_u32_e32 v5, vcc, v5, v19, vcc
	s_cmp_eq_u32 s24, s29
	s_waitcnt vmcnt(1) lgkmcnt(0)
	v_fmac_f32_e32 v14, s34, v15
	v_fmac_f32_e32 v13, s34, v16
	s_waitcnt vmcnt(0)
	v_fma_f32 v14, -v17, s33, v14
	v_fma_f32 v13, -v17, s0, v13
	;; [unrolled: 1-line block ×3, first 2 shown]
	v_fmac_f32_e32 v13, s35, v15
	v_fmac_f32_e32 v14, s0, v18
	v_fma_f32 v13, -s33, v18, v13
	s_cbranch_scc0 .LBB2_4
; %bb.5:                                ;   in Loop: Header=BB2_3 Depth=2
	v_add_lshl_u32 v4, v12, s13, 1
	v_ashrrev_i32_e32 v5, 31, v4
	v_lshlrev_b64 v[4:5], 2, v[4:5]
	v_mov_b32_e32 v6, s3
	v_add_co_u32_e32 v4, vcc, s2, v4
	v_addc_co_u32_e32 v5, vcc, v6, v5, vcc
	global_load_dwordx2 v[6:7], v[4:5], off
	s_add_i32 s13, s13, 1
	s_add_u32 s18, s18, 8
	s_addc_u32 s19, s19, 0
	s_cmp_eq_u32 s13, s24
	v_add_u32_e32 v3, 2, v3
	s_waitcnt vmcnt(0)
	v_fma_f32 v7, -v11, v14, v7
	v_fmac_f32_e32 v6, v11, v13
	global_store_dwordx2 v[4:5], v[6:7], off
	s_cbranch_scc0 .LBB2_3
; %bb.6:                                ;   in Loop: Header=BB2_2 Depth=1
	s_add_i32 s28, s28, 1
	s_add_i32 s12, s12, s10
	s_cmp_eq_u32 s28, s24
	v_add_u32_e32 v0, s10, v0
	s_cbranch_scc0 .LBB2_2
.LBB2_7:
	s_endpgm
	.section	.rodata,"a",@progbits
	.p2align	6, 0x0
	.amdhsa_kernel _Z13comm_refactorPK15HIP_vector_typeIfLj2EEPS0_S2_i
		.amdhsa_group_segment_fixed_size 0
		.amdhsa_private_segment_fixed_size 0
		.amdhsa_kernarg_size 288
		.amdhsa_user_sgpr_count 6
		.amdhsa_user_sgpr_private_segment_buffer 1
		.amdhsa_user_sgpr_dispatch_ptr 0
		.amdhsa_user_sgpr_queue_ptr 0
		.amdhsa_user_sgpr_kernarg_segment_ptr 1
		.amdhsa_user_sgpr_dispatch_id 0
		.amdhsa_user_sgpr_flat_scratch_init 0
		.amdhsa_user_sgpr_private_segment_size 0
		.amdhsa_uses_dynamic_stack 0
		.amdhsa_system_sgpr_private_segment_wavefront_offset 0
		.amdhsa_system_sgpr_workgroup_id_x 1
		.amdhsa_system_sgpr_workgroup_id_y 0
		.amdhsa_system_sgpr_workgroup_id_z 0
		.amdhsa_system_sgpr_workgroup_info 0
		.amdhsa_system_vgpr_workitem_id 0
		.amdhsa_next_free_vgpr 20
		.amdhsa_next_free_sgpr 36
		.amdhsa_reserve_vcc 1
		.amdhsa_reserve_flat_scratch 0
		.amdhsa_float_round_mode_32 0
		.amdhsa_float_round_mode_16_64 0
		.amdhsa_float_denorm_mode_32 3
		.amdhsa_float_denorm_mode_16_64 3
		.amdhsa_dx10_clamp 1
		.amdhsa_ieee_mode 1
		.amdhsa_fp16_overflow 0
		.amdhsa_exception_fp_ieee_invalid_op 0
		.amdhsa_exception_fp_denorm_src 0
		.amdhsa_exception_fp_ieee_div_zero 0
		.amdhsa_exception_fp_ieee_overflow 0
		.amdhsa_exception_fp_ieee_underflow 0
		.amdhsa_exception_fp_ieee_inexact 0
		.amdhsa_exception_int_div_zero 0
	.end_amdhsa_kernel
	.text
.Lfunc_end2:
	.size	_Z13comm_refactorPK15HIP_vector_typeIfLj2EEPS0_S2_i, .Lfunc_end2-_Z13comm_refactorPK15HIP_vector_typeIfLj2EEPS0_S2_i
                                        ; -- End function
	.set _Z13comm_refactorPK15HIP_vector_typeIfLj2EEPS0_S2_i.num_vgpr, 20
	.set _Z13comm_refactorPK15HIP_vector_typeIfLj2EEPS0_S2_i.num_agpr, 0
	.set _Z13comm_refactorPK15HIP_vector_typeIfLj2EEPS0_S2_i.numbered_sgpr, 36
	.set _Z13comm_refactorPK15HIP_vector_typeIfLj2EEPS0_S2_i.num_named_barrier, 0
	.set _Z13comm_refactorPK15HIP_vector_typeIfLj2EEPS0_S2_i.private_seg_size, 0
	.set _Z13comm_refactorPK15HIP_vector_typeIfLj2EEPS0_S2_i.uses_vcc, 1
	.set _Z13comm_refactorPK15HIP_vector_typeIfLj2EEPS0_S2_i.uses_flat_scratch, 0
	.set _Z13comm_refactorPK15HIP_vector_typeIfLj2EEPS0_S2_i.has_dyn_sized_stack, 0
	.set _Z13comm_refactorPK15HIP_vector_typeIfLj2EEPS0_S2_i.has_recursion, 0
	.set _Z13comm_refactorPK15HIP_vector_typeIfLj2EEPS0_S2_i.has_indirect_call, 0
	.section	.AMDGPU.csdata,"",@progbits
; Kernel info:
; codeLenInByte = 704
; TotalNumSgprs: 40
; NumVgprs: 20
; ScratchSize: 0
; MemoryBound: 0
; FloatMode: 240
; IeeeMode: 1
; LDSByteSize: 0 bytes/workgroup (compile time only)
; SGPRBlocks: 4
; VGPRBlocks: 4
; NumSGPRsForWavesPerEU: 40
; NumVGPRsForWavesPerEU: 20
; Occupancy: 10
; WaveLimiterHint : 0
; COMPUTE_PGM_RSRC2:SCRATCH_EN: 0
; COMPUTE_PGM_RSRC2:USER_SGPR: 6
; COMPUTE_PGM_RSRC2:TRAP_HANDLER: 0
; COMPUTE_PGM_RSRC2:TGID_X_EN: 1
; COMPUTE_PGM_RSRC2:TGID_Y_EN: 0
; COMPUTE_PGM_RSRC2:TGID_Z_EN: 0
; COMPUTE_PGM_RSRC2:TIDIG_COMP_CNT: 0
	.text
	.protected	_Z26comm_refactor_direct_storePK15HIP_vector_typeIfLj2EEPS0_S2_i ; -- Begin function _Z26comm_refactor_direct_storePK15HIP_vector_typeIfLj2EEPS0_S2_i
	.globl	_Z26comm_refactor_direct_storePK15HIP_vector_typeIfLj2EEPS0_S2_i
	.p2align	8
	.type	_Z26comm_refactor_direct_storePK15HIP_vector_typeIfLj2EEPS0_S2_i,@function
_Z26comm_refactor_direct_storePK15HIP_vector_typeIfLj2EEPS0_S2_i: ; @_Z26comm_refactor_direct_storePK15HIP_vector_typeIfLj2EEPS0_S2_i
; %bb.0:
	s_load_dword s22, s[4:5], 0x18
	s_waitcnt lgkmcnt(0)
	s_cmp_lt_i32 s22, 1
	s_cbranch_scc1 .LBB3_7
; %bb.1:
	s_load_dword s7, s[4:5], 0x2c
	s_load_dwordx4 s[0:3], s[4:5], 0x0
	s_load_dwordx2 s[8:9], s[4:5], 0x10
	s_mul_i32 s5, s22, s22
	s_lshl_b32 s4, s22, 1
	s_waitcnt lgkmcnt(0)
	s_and_b32 s7, s7, 0xffff
	s_mul_i32 s6, s6, s7
	v_add_u32_e32 v0, s6, v0
	s_mov_b32 s7, 0
	v_mul_lo_u32 v13, s5, v0
	s_mov_b32 s5, s7
	s_add_i32 s23, s4, 2
	s_lshl_b64 s[10:11], s[4:5], 2
	s_add_u32 s24, s0, 4
	s_addc_u32 s6, s1, 0
	s_ashr_i32 s5, s4, 31
	s_lshl_b64 s[0:1], s[4:5], 2
	v_lshlrev_b32_e32 v14, 1, v13
	s_add_u32 s5, s8, 4
	s_addc_u32 s25, s9, 0
	v_mov_b32_e32 v15, s6
	v_mov_b32_e32 v16, s3
	;; [unrolled: 1-line block ×4, first 2 shown]
	s_mov_b32 s12, s7
	s_mov_b32 s1, 0
.LBB3_2:                                ; =>This Loop Header: Depth=1
                                        ;     Child Loop BB3_3 Depth 2
                                        ;       Child Loop BB3_4 Depth 3
	v_ashrrev_i32_e32 v1, 31, v0
	s_mov_b32 s13, s7
	v_lshlrev_b64 v[1:2], 2, v[0:1]
	s_lshl_b64 s[14:15], s[12:13], 2
	s_add_u32 s14, s5, s14
	v_add_co_u32_e32 v1, vcc, s24, v1
	s_mul_i32 s3, s1, s22
	s_addc_u32 s15, s25, s15
	v_addc_co_u32_e32 v2, vcc, v15, v2, vcc
	v_add_u32_e32 v18, s3, v13
	v_mov_b32_e32 v3, v14
	s_mov_b64 s[16:17], s[8:9]
	s_mov_b32 s3, s7
.LBB3_3:                                ;   Parent Loop BB3_2 Depth=1
                                        ; =>  This Loop Header: Depth=2
                                        ;       Child Loop BB3_4 Depth 3
	v_add_lshl_u32 v4, s3, v18, 1
	v_ashrrev_i32_e32 v5, 31, v4
	v_lshlrev_b64 v[5:6], 2, v[4:5]
	v_ashrrev_i32_e32 v4, 31, v3
	v_add_co_u32_e32 v5, vcc, s2, v5
	v_addc_co_u32_e32 v6, vcc, v16, v6, vcc
	global_load_dwordx2 v[7:8], v[5:6], off
	v_lshlrev_b64 v[9:10], 2, v[3:4]
	s_mov_b32 s6, 0
	v_add_co_u32_e32 v9, vcc, s24, v9
	v_mov_b32_e32 v12, v2
	v_addc_co_u32_e32 v10, vcc, v15, v10, vcc
	v_mov_b32_e32 v11, v1
	s_mov_b64 s[18:19], s[14:15]
	s_mov_b64 s[20:21], s[16:17]
	s_mov_b32 s13, s6
.LBB3_4:                                ;   Parent Loop BB3_2 Depth=1
                                        ;     Parent Loop BB3_3 Depth=2
                                        ; =>    This Inner Loop Header: Depth=3
	global_load_dwordx2 v[19:20], v[9:10], off offset:-4
	global_load_dwordx2 v[21:22], v[11:12], off offset:-4
	s_add_u32 s26, s18, -4
	s_addc_u32 s27, s19, -1
	s_lshl_b64 s[28:29], s[6:7], 2
	s_load_dwordx2 s[30:31], s[26:27], 0x0
	s_add_u32 s26, s8, s28
	s_addc_u32 s27, s9, s29
	s_load_dword s33, s[20:21], 0x0
	s_add_i32 s13, s13, 1
	s_load_dword s26, s[26:27], 0x4
	s_add_i32 s6, s6, s23
	s_add_u32 s20, s20, s10
	v_add_co_u32_e32 v9, vcc, s0, v9
	s_addc_u32 s21, s21, s11
	v_addc_co_u32_e32 v10, vcc, v10, v17, vcc
	s_add_u32 s18, s18, 8
	v_add_co_u32_e32 v11, vcc, 8, v11
	s_addc_u32 s19, s19, 0
	v_addc_co_u32_e32 v12, vcc, 0, v12, vcc
	s_cmp_eq_u32 s22, s13
	s_waitcnt vmcnt(1) lgkmcnt(0)
	v_fmac_f32_e32 v7, s30, v20
	v_fma_f32 v4, -s30, v19, v8
	s_waitcnt vmcnt(0)
	v_fma_f32 v7, -v21, s26, v7
	v_fmac_f32_e32 v4, s33, v21
	v_fmac_f32_e32 v7, s31, v19
	;; [unrolled: 1-line block ×3, first 2 shown]
	v_fma_f32 v7, -v22, s33, v7
	v_fma_f32 v8, -s26, v22, v4
	s_cbranch_scc0 .LBB3_4
; %bb.5:                                ;   in Loop: Header=BB3_3 Depth=2
	s_add_i32 s3, s3, 1
	s_add_u32 s16, s16, 8
	s_addc_u32 s17, s17, 0
	s_cmp_eq_u32 s3, s22
	v_add_u32_e32 v3, 2, v3
	global_store_dwordx2 v[5:6], v[7:8], off
	s_cbranch_scc0 .LBB3_3
; %bb.6:                                ;   in Loop: Header=BB3_2 Depth=1
	s_add_i32 s1, s1, 1
	s_add_i32 s12, s12, s4
	s_cmp_eq_u32 s1, s22
	v_add_u32_e32 v0, s4, v0
	s_cbranch_scc0 .LBB3_2
.LBB3_7:
	s_endpgm
	.section	.rodata,"a",@progbits
	.p2align	6, 0x0
	.amdhsa_kernel _Z26comm_refactor_direct_storePK15HIP_vector_typeIfLj2EEPS0_S2_i
		.amdhsa_group_segment_fixed_size 0
		.amdhsa_private_segment_fixed_size 0
		.amdhsa_kernarg_size 288
		.amdhsa_user_sgpr_count 6
		.amdhsa_user_sgpr_private_segment_buffer 1
		.amdhsa_user_sgpr_dispatch_ptr 0
		.amdhsa_user_sgpr_queue_ptr 0
		.amdhsa_user_sgpr_kernarg_segment_ptr 1
		.amdhsa_user_sgpr_dispatch_id 0
		.amdhsa_user_sgpr_flat_scratch_init 0
		.amdhsa_user_sgpr_private_segment_size 0
		.amdhsa_uses_dynamic_stack 0
		.amdhsa_system_sgpr_private_segment_wavefront_offset 0
		.amdhsa_system_sgpr_workgroup_id_x 1
		.amdhsa_system_sgpr_workgroup_id_y 0
		.amdhsa_system_sgpr_workgroup_id_z 0
		.amdhsa_system_sgpr_workgroup_info 0
		.amdhsa_system_vgpr_workitem_id 0
		.amdhsa_next_free_vgpr 23
		.amdhsa_next_free_sgpr 34
		.amdhsa_reserve_vcc 1
		.amdhsa_reserve_flat_scratch 0
		.amdhsa_float_round_mode_32 0
		.amdhsa_float_round_mode_16_64 0
		.amdhsa_float_denorm_mode_32 3
		.amdhsa_float_denorm_mode_16_64 3
		.amdhsa_dx10_clamp 1
		.amdhsa_ieee_mode 1
		.amdhsa_fp16_overflow 0
		.amdhsa_exception_fp_ieee_invalid_op 0
		.amdhsa_exception_fp_denorm_src 0
		.amdhsa_exception_fp_ieee_div_zero 0
		.amdhsa_exception_fp_ieee_overflow 0
		.amdhsa_exception_fp_ieee_underflow 0
		.amdhsa_exception_fp_ieee_inexact 0
		.amdhsa_exception_int_div_zero 0
	.end_amdhsa_kernel
	.text
.Lfunc_end3:
	.size	_Z26comm_refactor_direct_storePK15HIP_vector_typeIfLj2EEPS0_S2_i, .Lfunc_end3-_Z26comm_refactor_direct_storePK15HIP_vector_typeIfLj2EEPS0_S2_i
                                        ; -- End function
	.set _Z26comm_refactor_direct_storePK15HIP_vector_typeIfLj2EEPS0_S2_i.num_vgpr, 23
	.set _Z26comm_refactor_direct_storePK15HIP_vector_typeIfLj2EEPS0_S2_i.num_agpr, 0
	.set _Z26comm_refactor_direct_storePK15HIP_vector_typeIfLj2EEPS0_S2_i.numbered_sgpr, 34
	.set _Z26comm_refactor_direct_storePK15HIP_vector_typeIfLj2EEPS0_S2_i.num_named_barrier, 0
	.set _Z26comm_refactor_direct_storePK15HIP_vector_typeIfLj2EEPS0_S2_i.private_seg_size, 0
	.set _Z26comm_refactor_direct_storePK15HIP_vector_typeIfLj2EEPS0_S2_i.uses_vcc, 1
	.set _Z26comm_refactor_direct_storePK15HIP_vector_typeIfLj2EEPS0_S2_i.uses_flat_scratch, 0
	.set _Z26comm_refactor_direct_storePK15HIP_vector_typeIfLj2EEPS0_S2_i.has_dyn_sized_stack, 0
	.set _Z26comm_refactor_direct_storePK15HIP_vector_typeIfLj2EEPS0_S2_i.has_recursion, 0
	.set _Z26comm_refactor_direct_storePK15HIP_vector_typeIfLj2EEPS0_S2_i.has_indirect_call, 0
	.section	.AMDGPU.csdata,"",@progbits
; Kernel info:
; codeLenInByte = 504
; TotalNumSgprs: 38
; NumVgprs: 23
; ScratchSize: 0
; MemoryBound: 0
; FloatMode: 240
; IeeeMode: 1
; LDSByteSize: 0 bytes/workgroup (compile time only)
; SGPRBlocks: 4
; VGPRBlocks: 5
; NumSGPRsForWavesPerEU: 38
; NumVGPRsForWavesPerEU: 23
; Occupancy: 10
; WaveLimiterHint : 0
; COMPUTE_PGM_RSRC2:SCRATCH_EN: 0
; COMPUTE_PGM_RSRC2:USER_SGPR: 6
; COMPUTE_PGM_RSRC2:TRAP_HANDLER: 0
; COMPUTE_PGM_RSRC2:TGID_X_EN: 1
; COMPUTE_PGM_RSRC2:TGID_Y_EN: 0
; COMPUTE_PGM_RSRC2:TGID_Z_EN: 0
; COMPUTE_PGM_RSRC2:TIDIG_COMP_CNT: 0
	.text
	.protected	_Z16comm_aosoa_naivePK15HIP_vector_typeIfLj2EEPS0_S2_i ; -- Begin function _Z16comm_aosoa_naivePK15HIP_vector_typeIfLj2EEPS0_S2_i
	.globl	_Z16comm_aosoa_naivePK15HIP_vector_typeIfLj2EEPS0_S2_i
	.p2align	8
	.type	_Z16comm_aosoa_naivePK15HIP_vector_typeIfLj2EEPS0_S2_i,@function
_Z16comm_aosoa_naivePK15HIP_vector_typeIfLj2EEPS0_S2_i: ; @_Z16comm_aosoa_naivePK15HIP_vector_typeIfLj2EEPS0_S2_i
; %bb.0:
	s_load_dword s8, s[4:5], 0x18
	s_waitcnt lgkmcnt(0)
	s_cmp_lt_i32 s8, 1
	s_cbranch_scc1 .LBB4_7
; %bb.1:
	s_load_dword s7, s[4:5], 0x2c
	s_load_dwordx4 s[0:3], s[4:5], 0x0
	s_load_dwordx2 s[10:11], s[4:5], 0x10
	s_mul_i32 s22, s8, s8
	s_mov_b32 s5, 0
	s_waitcnt lgkmcnt(0)
	s_and_b32 s4, s7, 0xffff
	s_mul_i32 s6, s6, s4
	v_add_u32_e32 v0, s6, v0
	v_ashrrev_i32_e32 v1, 31, v0
	v_lshrrev_b32_e32 v1, 29, v1
	v_add_u32_e32 v1, v0, v1
	s_lshl_b32 s4, s22, 4
	v_ashrrev_i32_e32 v4, 3, v1
	v_mul_lo_u32 v3, s4, v4
	s_add_i32 s4, s4, -8
	v_mul_lo_u32 v4, v4, s4
	v_and_b32_e32 v1, -8, v1
	v_sub_u32_e32 v1, v0, v1
	s_mov_b32 s9, s5
	s_lshl_b32 s23, s8, 4
	v_add_u32_e32 v2, 8, v1
	s_lshl_b64 s[6:7], s[8:9], 2
	v_mov_b32_e32 v5, s1
	v_mov_b32_e32 v6, v0
	s_mov_b64 s[12:13], s[10:11]
	s_mov_b32 s1, s22
	s_mov_b32 s9, 0
.LBB4_2:                                ; =>This Loop Header: Depth=1
                                        ;     Child Loop BB4_3 Depth 2
                                        ;       Child Loop BB4_4 Depth 3
	s_mul_i32 s24, s9, s8
	v_mov_b32_e32 v7, v0
	s_mov_b64 s[14:15], s[10:11]
	s_mov_b32 s25, s22
	s_mov_b32 s26, s5
.LBB4_3:                                ;   Parent Loop BB4_2 Depth=1
                                        ; =>  This Loop Header: Depth=2
                                        ;       Child Loop BB4_4 Depth 3
	v_mov_b32_e32 v8, 0
	s_mov_b32 s27, 0
	v_mov_b32_e32 v10, v6
	s_mov_b64 s[16:17], s[12:13]
	v_mov_b32_e32 v11, v7
	s_mov_b64 s[18:19], s[14:15]
	s_mov_b32 s20, s25
	v_mov_b32_e32 v9, 0
.LBB4_4:                                ;   Parent Loop BB4_2 Depth=1
                                        ;     Parent Loop BB4_3 Depth=2
                                        ; =>    This Inner Loop Header: Depth=3
	v_add_u32_e32 v12, v4, v11
	v_ashrrev_i32_e32 v13, 31, v12
	v_add_u32_e32 v14, v4, v10
	v_add_u32_e32 v16, 8, v12
	v_lshlrev_b64 v[12:13], 2, v[12:13]
	v_ashrrev_i32_e32 v15, 31, v14
	v_add_u32_e32 v18, 8, v14
	v_lshlrev_b64 v[14:15], 2, v[14:15]
	v_add_co_u32_e32 v12, vcc, s0, v12
	v_ashrrev_i32_e32 v17, 31, v16
	v_addc_co_u32_e32 v13, vcc, v5, v13, vcc
	v_lshlrev_b64 v[16:17], 2, v[16:17]
	v_add_co_u32_e32 v14, vcc, s0, v14
	v_ashrrev_i32_e32 v19, 31, v18
	v_addc_co_u32_e32 v15, vcc, v5, v15, vcc
	v_lshlrev_b64 v[18:19], 2, v[18:19]
	global_load_dword v20, v[12:13], off
	global_load_dword v21, v[14:15], off
	v_add_co_u32_e32 v12, vcc, s0, v16
	v_addc_co_u32_e32 v13, vcc, v5, v17, vcc
	v_add_co_u32_e32 v14, vcc, s0, v18
	v_addc_co_u32_e32 v15, vcc, v5, v19, vcc
	global_load_dword v16, v[12:13], off
	global_load_dword v17, v[14:15], off
	s_add_i32 s4, s1, s27
	s_lshl_b64 s[28:29], s[4:5], 2
	s_add_u32 s28, s10, s28
	s_addc_u32 s29, s11, s29
	s_ashr_i32 s21, s20, 31
	s_load_dword s30, s[16:17], 0x0
	s_load_dword s31, s[18:19], 0x0
	;; [unrolled: 1-line block ×3, first 2 shown]
	s_lshl_b64 s[28:29], s[20:21], 2
	s_add_u32 s28, s10, s28
	s_addc_u32 s29, s11, s29
	s_load_dword s21, s[28:29], 0x0
	s_add_i32 s27, s27, 1
	s_add_i32 s20, s20, s8
	s_add_u32 s18, s18, s6
	s_addc_u32 s19, s19, s7
	s_add_u32 s16, s16, 4
	s_addc_u32 s17, s17, 0
	v_add_u32_e32 v11, s23, v11
	v_add_u32_e32 v10, 16, v10
	s_cmp_eq_u32 s8, s27
	s_waitcnt vmcnt(3) lgkmcnt(0)
	v_fma_f32 v8, -s30, v20, v8
	s_waitcnt vmcnt(2)
	v_fmac_f32_e32 v8, s31, v21
	s_waitcnt vmcnt(1)
	v_fmac_f32_e32 v9, s30, v16
	v_fma_f32 v9, -v21, s21, v9
	v_fmac_f32_e32 v8, s4, v16
	v_fmac_f32_e32 v9, s4, v20
	s_waitcnt vmcnt(0)
	v_fma_f32 v8, -v17, s21, v8
	v_fma_f32 v9, -s31, v17, v9
	s_cbranch_scc0 .LBB4_4
; %bb.5:                                ;   in Loop: Header=BB4_3 Depth=2
	s_add_i32 s4, s26, s24
	v_lshl_add_u32 v12, s4, 4, v3
	v_add_u32_e32 v10, v12, v1
	v_ashrrev_i32_e32 v11, 31, v10
	v_lshlrev_b64 v[10:11], 2, v[10:11]
	v_add_u32_e32 v12, v2, v12
	v_ashrrev_i32_e32 v13, 31, v12
	v_mov_b32_e32 v14, s3
	v_add_co_u32_e32 v10, vcc, s2, v10
	v_lshlrev_b64 v[12:13], 2, v[12:13]
	v_addc_co_u32_e32 v11, vcc, v14, v11, vcc
	v_add_co_u32_e32 v12, vcc, s2, v12
	v_addc_co_u32_e32 v13, vcc, v14, v13, vcc
	global_load_dword v14, v[10:11], off
	global_load_dword v15, v[12:13], off
	s_add_i32 s26, s26, 1
	s_add_i32 s25, s25, 1
	s_add_u32 s14, s14, 4
	s_addc_u32 s15, s15, 0
	s_cmp_eq_u32 s26, s8
	v_add_u32_e32 v7, 16, v7
	s_waitcnt vmcnt(1)
	v_add_f32_e32 v9, v9, v14
	s_waitcnt vmcnt(0)
	v_add_f32_e32 v8, v8, v15
	global_store_dword v[10:11], v9, off
	global_store_dword v[12:13], v8, off
	s_cbranch_scc0 .LBB4_3
; %bb.6:                                ;   in Loop: Header=BB4_2 Depth=1
	s_add_i32 s9, s9, 1
	s_add_i32 s1, s1, s8
	s_add_u32 s12, s12, s6
	s_addc_u32 s13, s13, s7
	s_cmp_eq_u32 s9, s8
	v_add_u32_e32 v6, s23, v6
	s_cbranch_scc0 .LBB4_2
.LBB4_7:
	s_endpgm
	.section	.rodata,"a",@progbits
	.p2align	6, 0x0
	.amdhsa_kernel _Z16comm_aosoa_naivePK15HIP_vector_typeIfLj2EEPS0_S2_i
		.amdhsa_group_segment_fixed_size 0
		.amdhsa_private_segment_fixed_size 0
		.amdhsa_kernarg_size 288
		.amdhsa_user_sgpr_count 6
		.amdhsa_user_sgpr_private_segment_buffer 1
		.amdhsa_user_sgpr_dispatch_ptr 0
		.amdhsa_user_sgpr_queue_ptr 0
		.amdhsa_user_sgpr_kernarg_segment_ptr 1
		.amdhsa_user_sgpr_dispatch_id 0
		.amdhsa_user_sgpr_flat_scratch_init 0
		.amdhsa_user_sgpr_private_segment_size 0
		.amdhsa_uses_dynamic_stack 0
		.amdhsa_system_sgpr_private_segment_wavefront_offset 0
		.amdhsa_system_sgpr_workgroup_id_x 1
		.amdhsa_system_sgpr_workgroup_id_y 0
		.amdhsa_system_sgpr_workgroup_id_z 0
		.amdhsa_system_sgpr_workgroup_info 0
		.amdhsa_system_vgpr_workitem_id 0
		.amdhsa_next_free_vgpr 22
		.amdhsa_next_free_sgpr 32
		.amdhsa_reserve_vcc 1
		.amdhsa_reserve_flat_scratch 0
		.amdhsa_float_round_mode_32 0
		.amdhsa_float_round_mode_16_64 0
		.amdhsa_float_denorm_mode_32 3
		.amdhsa_float_denorm_mode_16_64 3
		.amdhsa_dx10_clamp 1
		.amdhsa_ieee_mode 1
		.amdhsa_fp16_overflow 0
		.amdhsa_exception_fp_ieee_invalid_op 0
		.amdhsa_exception_fp_denorm_src 0
		.amdhsa_exception_fp_ieee_div_zero 0
		.amdhsa_exception_fp_ieee_overflow 0
		.amdhsa_exception_fp_ieee_underflow 0
		.amdhsa_exception_fp_ieee_inexact 0
		.amdhsa_exception_int_div_zero 0
	.end_amdhsa_kernel
	.text
.Lfunc_end4:
	.size	_Z16comm_aosoa_naivePK15HIP_vector_typeIfLj2EEPS0_S2_i, .Lfunc_end4-_Z16comm_aosoa_naivePK15HIP_vector_typeIfLj2EEPS0_S2_i
                                        ; -- End function
	.set _Z16comm_aosoa_naivePK15HIP_vector_typeIfLj2EEPS0_S2_i.num_vgpr, 22
	.set _Z16comm_aosoa_naivePK15HIP_vector_typeIfLj2EEPS0_S2_i.num_agpr, 0
	.set _Z16comm_aosoa_naivePK15HIP_vector_typeIfLj2EEPS0_S2_i.numbered_sgpr, 32
	.set _Z16comm_aosoa_naivePK15HIP_vector_typeIfLj2EEPS0_S2_i.num_named_barrier, 0
	.set _Z16comm_aosoa_naivePK15HIP_vector_typeIfLj2EEPS0_S2_i.private_seg_size, 0
	.set _Z16comm_aosoa_naivePK15HIP_vector_typeIfLj2EEPS0_S2_i.uses_vcc, 1
	.set _Z16comm_aosoa_naivePK15HIP_vector_typeIfLj2EEPS0_S2_i.uses_flat_scratch, 0
	.set _Z16comm_aosoa_naivePK15HIP_vector_typeIfLj2EEPS0_S2_i.has_dyn_sized_stack, 0
	.set _Z16comm_aosoa_naivePK15HIP_vector_typeIfLj2EEPS0_S2_i.has_recursion, 0
	.set _Z16comm_aosoa_naivePK15HIP_vector_typeIfLj2EEPS0_S2_i.has_indirect_call, 0
	.section	.AMDGPU.csdata,"",@progbits
; Kernel info:
; codeLenInByte = 676
; TotalNumSgprs: 36
; NumVgprs: 22
; ScratchSize: 0
; MemoryBound: 0
; FloatMode: 240
; IeeeMode: 1
; LDSByteSize: 0 bytes/workgroup (compile time only)
; SGPRBlocks: 4
; VGPRBlocks: 5
; NumSGPRsForWavesPerEU: 36
; NumVGPRsForWavesPerEU: 22
; Occupancy: 10
; WaveLimiterHint : 0
; COMPUTE_PGM_RSRC2:SCRATCH_EN: 0
; COMPUTE_PGM_RSRC2:USER_SGPR: 6
; COMPUTE_PGM_RSRC2:TRAP_HANDLER: 0
; COMPUTE_PGM_RSRC2:TGID_X_EN: 1
; COMPUTE_PGM_RSRC2:TGID_Y_EN: 0
; COMPUTE_PGM_RSRC2:TGID_Z_EN: 0
; COMPUTE_PGM_RSRC2:TIDIG_COMP_CNT: 0
	.text
	.protected	_Z26comm_aosoa_naive_constantsPK15HIP_vector_typeIfLj2EEPS0_S2_i ; -- Begin function _Z26comm_aosoa_naive_constantsPK15HIP_vector_typeIfLj2EEPS0_S2_i
	.globl	_Z26comm_aosoa_naive_constantsPK15HIP_vector_typeIfLj2EEPS0_S2_i
	.p2align	8
	.type	_Z26comm_aosoa_naive_constantsPK15HIP_vector_typeIfLj2EEPS0_S2_i,@function
_Z26comm_aosoa_naive_constantsPK15HIP_vector_typeIfLj2EEPS0_S2_i: ; @_Z26comm_aosoa_naive_constantsPK15HIP_vector_typeIfLj2EEPS0_S2_i
; %bb.0:
	s_load_dword s7, s[4:5], 0x2c
	s_load_dwordx4 s[0:3], s[4:5], 0x0
	s_load_dwordx2 s[12:13], s[4:5], 0x10
	s_mov_b32 s17, 0
	s_mov_b32 s24, 0
	s_waitcnt lgkmcnt(0)
	s_and_b32 s4, s7, 0xffff
	s_mul_i32 s6, s6, s4
	v_add_u32_e32 v0, s6, v0
	v_ashrrev_i32_e32 v1, 31, v0
	v_lshrrev_b32_e32 v1, 29, v1
	v_add_u32_e32 v1, v0, v1
	v_ashrrev_i32_e32 v2, 3, v1
	s_movk_i32 s4, 0x310
	v_mul_lo_u32 v3, v2, s4
	v_and_b32_e32 v1, -8, v1
	s_movk_i32 s4, 0x308
	v_sub_u32_e32 v4, v0, v1
	v_mad_u64_u32 v[0:1], s[4:5], v2, s4, v[0:1]
	s_add_u32 s14, s12, 0x16c
	v_add_u32_e32 v5, 8, v4
	s_addc_u32 s15, s13, 0
	v_mov_b32_e32 v6, s1
	v_mov_b32_e32 v7, v0
.LBB5_1:                                ; =>This Loop Header: Depth=1
                                        ;     Child Loop BB5_2 Depth 2
	s_mul_i32 s16, s24, 7
	s_lshl_b64 s[4:5], s[16:17], 2
	s_add_u32 s22, s12, s4
	s_mul_i32 s4, s24, 0x70
	v_add_u32_e32 v8, s4, v3
	v_add_u32_e32 v1, v8, v4
	v_ashrrev_i32_e32 v2, 31, v1
	v_lshlrev_b64 v[1:2], 2, v[1:2]
	v_add_u32_e32 v8, v5, v8
	v_ashrrev_i32_e32 v9, 31, v8
	s_addc_u32 s23, s13, s5
	v_add_co_u32_e32 v1, vcc, s0, v1
	v_lshlrev_b64 v[8:9], 2, v[8:9]
	s_lshl_b32 s4, s16, 4
	v_addc_co_u32_e32 v2, vcc, v6, v2, vcc
	v_add3_u32 v10, s4, 16, v3
	v_add_co_u32_e32 v16, vcc, s0, v8
	v_add_u32_e32 v8, v10, v4
	v_addc_co_u32_e32 v17, vcc, v6, v9, vcc
	v_ashrrev_i32_e32 v9, 31, v8
	v_lshlrev_b64 v[8:9], 2, v[8:9]
	s_add_i32 s5, s4, 0x50
	v_add_co_u32_e32 v18, vcc, s0, v8
	v_add_u32_e32 v8, v5, v10
	v_addc_co_u32_e32 v19, vcc, v6, v9, vcc
	v_ashrrev_i32_e32 v9, 31, v8
	v_lshlrev_b64 v[8:9], 2, v[8:9]
	v_add3_u32 v10, s4, 32, v3
	v_add_co_u32_e32 v20, vcc, s0, v8
	v_add_u32_e32 v8, v10, v4
	v_addc_co_u32_e32 v21, vcc, v6, v9, vcc
	v_ashrrev_i32_e32 v9, 31, v8
	v_lshlrev_b64 v[8:9], 2, v[8:9]
	s_mov_b32 s26, 0
	v_add_co_u32_e32 v22, vcc, s0, v8
	v_add_u32_e32 v8, v5, v10
	v_addc_co_u32_e32 v23, vcc, v6, v9, vcc
	v_ashrrev_i32_e32 v9, 31, v8
	v_lshlrev_b64 v[8:9], 2, v[8:9]
	v_add3_u32 v10, s4, 48, v3
	v_add_co_u32_e32 v24, vcc, s0, v8
	v_add_u32_e32 v8, v10, v4
	v_addc_co_u32_e32 v25, vcc, v6, v9, vcc
	v_ashrrev_i32_e32 v9, 31, v8
	v_lshlrev_b64 v[8:9], 2, v[8:9]
	v_add_co_u32_e32 v26, vcc, s0, v8
	v_add_u32_e32 v8, v5, v10
	v_addc_co_u32_e32 v27, vcc, v6, v9, vcc
	v_ashrrev_i32_e32 v9, 31, v8
	v_lshlrev_b64 v[8:9], 2, v[8:9]
	v_add_co_u32_e32 v28, vcc, s0, v8
	v_addc_co_u32_e32 v29, vcc, v6, v9, vcc
	global_load_dword v8, v[1:2], off
	global_load_dword v9, v[16:17], off
	;; [unrolled: 1-line block ×8, first 2 shown]
	v_add3_u32 v16, s4, 64, v3
	v_add_u32_e32 v1, v16, v4
	v_ashrrev_i32_e32 v2, 31, v1
	v_lshlrev_b64 v[1:2], 2, v[1:2]
	v_add_u32_e32 v16, v5, v16
	v_ashrrev_i32_e32 v17, 31, v16
	v_add_co_u32_e32 v1, vcc, s0, v1
	v_lshlrev_b64 v[16:17], 2, v[16:17]
	v_addc_co_u32_e32 v2, vcc, v6, v2, vcc
	v_add_u32_e32 v18, s5, v3
	v_add_co_u32_e32 v22, vcc, s0, v16
	v_add_u32_e32 v16, v18, v4
	v_addc_co_u32_e32 v23, vcc, v6, v17, vcc
	v_ashrrev_i32_e32 v17, 31, v16
	v_lshlrev_b64 v[16:17], 2, v[16:17]
	s_addk_i32 s4, 0x60
	v_add_co_u32_e32 v24, vcc, s0, v16
	v_add_u32_e32 v16, v5, v18
	v_addc_co_u32_e32 v25, vcc, v6, v17, vcc
	v_ashrrev_i32_e32 v17, 31, v16
	v_lshlrev_b64 v[16:17], 2, v[16:17]
	v_add_u32_e32 v18, s4, v3
	v_add_co_u32_e32 v26, vcc, s0, v16
	v_add_u32_e32 v16, v18, v4
	v_addc_co_u32_e32 v27, vcc, v6, v17, vcc
	v_ashrrev_i32_e32 v17, 31, v16
	v_lshlrev_b64 v[16:17], 2, v[16:17]
	v_add_co_u32_e32 v28, vcc, s0, v16
	v_add_u32_e32 v16, v5, v18
	v_addc_co_u32_e32 v29, vcc, v6, v17, vcc
	v_ashrrev_i32_e32 v17, 31, v16
	v_lshlrev_b64 v[16:17], 2, v[16:17]
	v_add_co_u32_e32 v30, vcc, s0, v16
	v_addc_co_u32_e32 v31, vcc, v6, v17, vcc
	global_load_dword v16, v[1:2], off
	global_load_dword v17, v[22:23], off
	;; [unrolled: 1-line block ×6, first 2 shown]
	s_load_dwordx4 s[4:7], s[22:23], 0x0
	s_load_dwordx2 s[18:19], s[22:23], 0x10
	s_load_dword s16, s[22:23], 0x18
	s_load_dwordx4 s[8:11], s[22:23], 0xc4
	s_load_dwordx2 s[20:21], s[22:23], 0xd4
	s_load_dword s25, s[22:23], 0xdc
	s_mov_b64 s[22:23], s[14:15]
.LBB5_2:                                ;   Parent Loop BB5_1 Depth=1
                                        ; =>  This Inner Loop Header: Depth=2
	v_add_u32_e32 v1, s26, v0
	v_ashrrev_i32_e32 v2, 31, v1
	v_lshlrev_b64 v[22:23], 2, v[1:2]
	v_mov_b32_e32 v2, s1
	v_add_co_u32_e32 v22, vcc, s0, v22
	v_addc_co_u32_e32 v23, vcc, v2, v23, vcc
	global_load_dword v24, v[22:23], off
	v_add_u32_e32 v22, 8, v1
	v_ashrrev_i32_e32 v23, 31, v22
	v_lshlrev_b64 v[22:23], 2, v[22:23]
	s_add_u32 s28, s22, 0xfffffe94
	v_add_co_u32_e32 v22, vcc, s0, v22
	v_addc_co_u32_e32 v23, vcc, v2, v23, vcc
	global_load_dword v22, v[22:23], off
	s_addc_u32 s29, s23, -1
	s_load_dword s27, s[28:29], 0x0
	s_add_u32 s28, s22, 0xffffff58
	s_addc_u32 s29, s23, -1
	s_load_dword s28, s[28:29], 0x0
	s_waitcnt vmcnt(1) lgkmcnt(0)
	v_fma_f32 v25, -s4, v24, 0
	v_fmac_f32_e32 v25, s27, v8
	s_waitcnt vmcnt(0)
	v_fmac_f32_e32 v25, s8, v22
	v_fma_f32 v22, s4, v22, 0
	v_fma_f32 v22, -v8, s28, v22
	v_fmac_f32_e32 v22, s8, v24
	v_fma_f32 v24, -s27, v9, v22
	v_add_u32_e32 v22, 0x70, v1
	v_ashrrev_i32_e32 v23, 31, v22
	v_lshlrev_b64 v[22:23], 2, v[22:23]
	v_fma_f32 v25, -v9, s28, v25
	v_add_co_u32_e32 v22, vcc, s0, v22
	v_addc_co_u32_e32 v23, vcc, v2, v23, vcc
	global_load_dword v26, v[22:23], off
	v_add_u32_e32 v22, 0x78, v1
	v_ashrrev_i32_e32 v23, 31, v22
	v_lshlrev_b64 v[22:23], 2, v[22:23]
	s_add_u32 s28, s22, 0xfffffeb0
	v_add_co_u32_e32 v22, vcc, s0, v22
	v_addc_co_u32_e32 v23, vcc, v2, v23, vcc
	global_load_dword v22, v[22:23], off
	s_addc_u32 s29, s23, -1
	s_load_dword s27, s[28:29], 0x0
	s_add_u32 s28, s22, 0xffffff74
	s_addc_u32 s29, s23, -1
	s_load_dword s28, s[28:29], 0x0
	s_waitcnt vmcnt(1)
	v_fma_f32 v25, -s5, v26, v25
	s_waitcnt lgkmcnt(0)
	v_fmac_f32_e32 v25, s27, v10
	s_waitcnt vmcnt(0)
	v_fmac_f32_e32 v24, s5, v22
	v_fmac_f32_e32 v25, s9, v22
	v_fma_f32 v22, -v10, s28, v24
	v_fmac_f32_e32 v22, s9, v26
	v_fma_f32 v24, -s27, v11, v22
	v_add_u32_e32 v22, 0xe0, v1
	v_ashrrev_i32_e32 v23, 31, v22
	v_lshlrev_b64 v[22:23], 2, v[22:23]
	v_fma_f32 v25, -v11, s28, v25
	v_add_co_u32_e32 v22, vcc, s0, v22
	v_addc_co_u32_e32 v23, vcc, v2, v23, vcc
	global_load_dword v26, v[22:23], off
	v_add_u32_e32 v22, 0xe8, v1
	v_ashrrev_i32_e32 v23, 31, v22
	v_lshlrev_b64 v[22:23], 2, v[22:23]
	s_add_u32 s28, s22, 0xfffffecc
	v_add_co_u32_e32 v22, vcc, s0, v22
	v_addc_co_u32_e32 v23, vcc, v2, v23, vcc
	global_load_dword v22, v[22:23], off
	s_addc_u32 s29, s23, -1
	s_load_dword s27, s[28:29], 0x0
	s_add_u32 s28, s22, 0xffffff90
	s_addc_u32 s29, s23, -1
	s_load_dword s28, s[28:29], 0x0
	s_waitcnt vmcnt(1)
	v_fma_f32 v25, -s6, v26, v25
	s_waitcnt lgkmcnt(0)
	v_fmac_f32_e32 v25, s27, v12
	s_waitcnt vmcnt(0)
	v_fmac_f32_e32 v24, s6, v22
	v_fmac_f32_e32 v25, s10, v22
	;; [unrolled: 29-line block ×5, first 2 shown]
	v_fma_f32 v22, -v18, s28, v24
	v_fmac_f32_e32 v22, s21, v26
	v_fma_f32 v24, -s27, v19, v22
	v_add_u32_e32 v22, 0x2a0, v1
	v_ashrrev_i32_e32 v23, 31, v22
	v_lshlrev_b64 v[22:23], 2, v[22:23]
	v_fma_f32 v25, -v19, s28, v25
	v_add_co_u32_e32 v22, vcc, s0, v22
	v_addc_co_u32_e32 v23, vcc, v2, v23, vcc
	global_load_dword v26, v[22:23], off
	v_add_u32_e32 v22, 0x2a8, v1
	v_ashrrev_i32_e32 v23, 31, v22
	v_lshlrev_b64 v[22:23], 2, v[22:23]
	s_add_u32 s28, s22, 0xffffff3c
	v_add_co_u32_e32 v1, vcc, s0, v22
	v_addc_co_u32_e32 v2, vcc, v2, v23, vcc
	global_load_dword v1, v[1:2], off
	s_addc_u32 s29, s23, -1
	s_load_dword s27, s[28:29], 0x0
	s_waitcnt vmcnt(1)
	v_fma_f32 v25, -s16, v26, v25
	s_load_dword s28, s[22:23], 0x0
	s_waitcnt lgkmcnt(0)
	v_fmac_f32_e32 v25, s27, v20
	s_waitcnt vmcnt(0)
	v_fmac_f32_e32 v24, s16, v1
	v_fmac_f32_e32 v25, s25, v1
	v_fma_f32 v1, -v20, s28, v24
	v_fmac_f32_e32 v1, s25, v26
	v_fma_f32 v22, -v21, s28, v25
	v_fma_f32 v25, -s27, v21, v1
	v_add_u32_e32 v1, s26, v7
	v_ashrrev_i32_e32 v2, 31, v1
	v_lshlrev_b64 v[23:24], 2, v[1:2]
	v_mov_b32_e32 v26, s3
	v_add_co_u32_e32 v23, vcc, s2, v23
	v_addc_co_u32_e32 v24, vcc, v26, v24, vcc
	global_load_dword v2, v[23:24], off
	v_add_u32_e32 v1, 8, v1
	s_add_i32 s26, s26, 16
	s_add_u32 s22, s22, 4
	s_addc_u32 s23, s23, 0
	s_cmpk_lg_i32 s26, 0x70
	s_waitcnt vmcnt(0)
	v_add_f32_e32 v2, v25, v2
	global_store_dword v[23:24], v2, off
	v_ashrrev_i32_e32 v2, 31, v1
	v_lshlrev_b64 v[1:2], 2, v[1:2]
	v_add_co_u32_e32 v1, vcc, s2, v1
	v_addc_co_u32_e32 v2, vcc, v26, v2, vcc
	global_load_dword v23, v[1:2], off
	s_waitcnt vmcnt(0)
	v_add_f32_e32 v22, v22, v23
	global_store_dword v[1:2], v22, off
	s_cbranch_scc1 .LBB5_2
; %bb.3:                                ;   in Loop: Header=BB5_1 Depth=1
	s_add_i32 s24, s24, 1
	s_cmp_eq_u32 s24, 7
	v_add_u32_e32 v7, 0x70, v7
	s_cbranch_scc0 .LBB5_1
; %bb.4:
	s_endpgm
	.section	.rodata,"a",@progbits
	.p2align	6, 0x0
	.amdhsa_kernel _Z26comm_aosoa_naive_constantsPK15HIP_vector_typeIfLj2EEPS0_S2_i
		.amdhsa_group_segment_fixed_size 0
		.amdhsa_private_segment_fixed_size 0
		.amdhsa_kernarg_size 288
		.amdhsa_user_sgpr_count 6
		.amdhsa_user_sgpr_private_segment_buffer 1
		.amdhsa_user_sgpr_dispatch_ptr 0
		.amdhsa_user_sgpr_queue_ptr 0
		.amdhsa_user_sgpr_kernarg_segment_ptr 1
		.amdhsa_user_sgpr_dispatch_id 0
		.amdhsa_user_sgpr_flat_scratch_init 0
		.amdhsa_user_sgpr_private_segment_size 0
		.amdhsa_uses_dynamic_stack 0
		.amdhsa_system_sgpr_private_segment_wavefront_offset 0
		.amdhsa_system_sgpr_workgroup_id_x 1
		.amdhsa_system_sgpr_workgroup_id_y 0
		.amdhsa_system_sgpr_workgroup_id_z 0
		.amdhsa_system_sgpr_workgroup_info 0
		.amdhsa_system_vgpr_workitem_id 0
		.amdhsa_next_free_vgpr 32
		.amdhsa_next_free_sgpr 30
		.amdhsa_reserve_vcc 1
		.amdhsa_reserve_flat_scratch 0
		.amdhsa_float_round_mode_32 0
		.amdhsa_float_round_mode_16_64 0
		.amdhsa_float_denorm_mode_32 3
		.amdhsa_float_denorm_mode_16_64 3
		.amdhsa_dx10_clamp 1
		.amdhsa_ieee_mode 1
		.amdhsa_fp16_overflow 0
		.amdhsa_exception_fp_ieee_invalid_op 0
		.amdhsa_exception_fp_denorm_src 0
		.amdhsa_exception_fp_ieee_div_zero 0
		.amdhsa_exception_fp_ieee_overflow 0
		.amdhsa_exception_fp_ieee_underflow 0
		.amdhsa_exception_fp_ieee_inexact 0
		.amdhsa_exception_int_div_zero 0
	.end_amdhsa_kernel
	.text
.Lfunc_end5:
	.size	_Z26comm_aosoa_naive_constantsPK15HIP_vector_typeIfLj2EEPS0_S2_i, .Lfunc_end5-_Z26comm_aosoa_naive_constantsPK15HIP_vector_typeIfLj2EEPS0_S2_i
                                        ; -- End function
	.set _Z26comm_aosoa_naive_constantsPK15HIP_vector_typeIfLj2EEPS0_S2_i.num_vgpr, 32
	.set _Z26comm_aosoa_naive_constantsPK15HIP_vector_typeIfLj2EEPS0_S2_i.num_agpr, 0
	.set _Z26comm_aosoa_naive_constantsPK15HIP_vector_typeIfLj2EEPS0_S2_i.numbered_sgpr, 30
	.set _Z26comm_aosoa_naive_constantsPK15HIP_vector_typeIfLj2EEPS0_S2_i.num_named_barrier, 0
	.set _Z26comm_aosoa_naive_constantsPK15HIP_vector_typeIfLj2EEPS0_S2_i.private_seg_size, 0
	.set _Z26comm_aosoa_naive_constantsPK15HIP_vector_typeIfLj2EEPS0_S2_i.uses_vcc, 1
	.set _Z26comm_aosoa_naive_constantsPK15HIP_vector_typeIfLj2EEPS0_S2_i.uses_flat_scratch, 0
	.set _Z26comm_aosoa_naive_constantsPK15HIP_vector_typeIfLj2EEPS0_S2_i.has_dyn_sized_stack, 0
	.set _Z26comm_aosoa_naive_constantsPK15HIP_vector_typeIfLj2EEPS0_S2_i.has_recursion, 0
	.set _Z26comm_aosoa_naive_constantsPK15HIP_vector_typeIfLj2EEPS0_S2_i.has_indirect_call, 0
	.section	.AMDGPU.csdata,"",@progbits
; Kernel info:
; codeLenInByte = 2044
; TotalNumSgprs: 34
; NumVgprs: 32
; ScratchSize: 0
; MemoryBound: 0
; FloatMode: 240
; IeeeMode: 1
; LDSByteSize: 0 bytes/workgroup (compile time only)
; SGPRBlocks: 4
; VGPRBlocks: 7
; NumSGPRsForWavesPerEU: 34
; NumVGPRsForWavesPerEU: 32
; Occupancy: 8
; WaveLimiterHint : 0
; COMPUTE_PGM_RSRC2:SCRATCH_EN: 0
; COMPUTE_PGM_RSRC2:USER_SGPR: 6
; COMPUTE_PGM_RSRC2:TRAP_HANDLER: 0
; COMPUTE_PGM_RSRC2:TGID_X_EN: 1
; COMPUTE_PGM_RSRC2:TGID_Y_EN: 0
; COMPUTE_PGM_RSRC2:TGID_Z_EN: 0
; COMPUTE_PGM_RSRC2:TIDIG_COMP_CNT: 0
	.text
	.protected	_Z31comm_aosoa_naive_constants_permPK15HIP_vector_typeIfLj2EEPS0_S2_ ; -- Begin function _Z31comm_aosoa_naive_constants_permPK15HIP_vector_typeIfLj2EEPS0_S2_
	.globl	_Z31comm_aosoa_naive_constants_permPK15HIP_vector_typeIfLj2EEPS0_S2_
	.p2align	8
	.type	_Z31comm_aosoa_naive_constants_permPK15HIP_vector_typeIfLj2EEPS0_S2_,@function
_Z31comm_aosoa_naive_constants_permPK15HIP_vector_typeIfLj2EEPS0_S2_: ; @_Z31comm_aosoa_naive_constants_permPK15HIP_vector_typeIfLj2EEPS0_S2_
; %bb.0:
	s_load_dword s7, s[4:5], 0x24
	s_load_dwordx4 s[0:3], s[4:5], 0x0
	s_load_dwordx2 s[12:13], s[4:5], 0x10
	s_mov_b32 s24, 0
	s_mov_b64 s[14:15], 0xc4
	s_waitcnt lgkmcnt(0)
	s_and_b32 s4, s7, 0xffff
	s_mul_i32 s6, s6, s4
	v_add_u32_e32 v30, s6, v0
	v_ashrrev_i32_e32 v0, 31, v30
	v_lshrrev_b32_e32 v0, 29, v0
	v_add_u32_e32 v0, v30, v0
	v_ashrrev_i32_e32 v1, 3, v0
	s_movk_i32 s4, 0x310
	v_mul_lo_u32 v31, v1, s4
	s_movk_i32 s4, 0x308
	v_mul_lo_u32 v34, v1, s4
	v_and_b32_e32 v0, -8, v0
	v_sub_u32_e32 v32, v30, v0
	v_add_u32_e32 v33, 8, v32
	v_mov_b32_e32 v35, s3
	v_mov_b32_e32 v36, v30
.LBB6_1:                                ; =>This Loop Header: Depth=1
                                        ;     Child Loop BB6_2 Depth 2
	s_mul_i32 s3, s24, 0x70
	v_add_u32_e32 v24, s3, v31
	v_add_u32_e32 v0, v24, v32
	v_ashrrev_i32_e32 v1, 31, v0
	v_lshlrev_b64 v[0:1], 2, v[0:1]
	v_add_u32_e32 v2, v33, v24
	v_ashrrev_i32_e32 v3, 31, v2
	v_add_u32_e32 v6, 16, v24
	v_add_co_u32_e32 v0, vcc, s2, v0
	v_lshlrev_b64 v[2:3], 2, v[2:3]
	v_add_u32_e32 v4, v6, v32
	v_addc_co_u32_e32 v1, vcc, v35, v1, vcc
	v_ashrrev_i32_e32 v5, 31, v4
	v_add_co_u32_e32 v2, vcc, s2, v2
	v_lshlrev_b64 v[4:5], 2, v[4:5]
	v_add_u32_e32 v6, v33, v6
	v_addc_co_u32_e32 v3, vcc, v35, v3, vcc
	v_ashrrev_i32_e32 v7, 31, v6
	v_add_u32_e32 v10, 32, v24
	v_add_co_u32_e32 v4, vcc, s2, v4
	v_lshlrev_b64 v[6:7], 2, v[6:7]
	v_add_u32_e32 v8, v10, v32
	v_addc_co_u32_e32 v5, vcc, v35, v5, vcc
	v_ashrrev_i32_e32 v9, 31, v8
	v_add_co_u32_e32 v6, vcc, s2, v6
	v_lshlrev_b64 v[8:9], 2, v[8:9]
	v_add_u32_e32 v10, v33, v10
	v_addc_co_u32_e32 v7, vcc, v35, v7, vcc
	v_ashrrev_i32_e32 v11, 31, v10
	v_add_u32_e32 v14, 48, v24
	v_add_co_u32_e32 v8, vcc, s2, v8
	v_lshlrev_b64 v[10:11], 2, v[10:11]
	v_add_u32_e32 v12, v14, v32
	v_addc_co_u32_e32 v9, vcc, v35, v9, vcc
	v_ashrrev_i32_e32 v13, 31, v12
	v_add_co_u32_e32 v10, vcc, s2, v10
	v_lshlrev_b64 v[12:13], 2, v[12:13]
	v_add_u32_e32 v14, v33, v14
	v_addc_co_u32_e32 v11, vcc, v35, v11, vcc
	v_ashrrev_i32_e32 v15, 31, v14
	v_add_u32_e32 v18, 64, v24
	v_add_co_u32_e32 v12, vcc, s2, v12
	v_lshlrev_b64 v[14:15], 2, v[14:15]
	v_add_u32_e32 v16, v18, v32
	v_addc_co_u32_e32 v13, vcc, v35, v13, vcc
	v_ashrrev_i32_e32 v17, 31, v16
	v_add_co_u32_e32 v14, vcc, s2, v14
	v_lshlrev_b64 v[16:17], 2, v[16:17]
	v_add_u32_e32 v18, v33, v18
	v_addc_co_u32_e32 v15, vcc, v35, v15, vcc
	v_ashrrev_i32_e32 v19, 31, v18
	v_add_u32_e32 v22, 0x50, v24
	v_add_co_u32_e32 v16, vcc, s2, v16
	v_lshlrev_b64 v[18:19], 2, v[18:19]
	v_add_u32_e32 v20, v22, v32
	v_addc_co_u32_e32 v17, vcc, v35, v17, vcc
	v_ashrrev_i32_e32 v21, 31, v20
	v_add_co_u32_e32 v18, vcc, s2, v18
	v_lshlrev_b64 v[20:21], 2, v[20:21]
	v_add_u32_e32 v22, v33, v22
	v_addc_co_u32_e32 v19, vcc, v35, v19, vcc
	v_ashrrev_i32_e32 v23, 31, v22
	v_add_u32_e32 v26, 0x60, v24
	v_add_co_u32_e32 v20, vcc, s2, v20
	v_lshlrev_b64 v[22:23], 2, v[22:23]
	v_add_u32_e32 v24, v26, v32
	v_addc_co_u32_e32 v21, vcc, v35, v21, vcc
	v_ashrrev_i32_e32 v25, 31, v24
	v_add_co_u32_e32 v22, vcc, s2, v22
	v_lshlrev_b64 v[24:25], 2, v[24:25]
	v_add_u32_e32 v26, v33, v26
	v_addc_co_u32_e32 v23, vcc, v35, v23, vcc
	v_ashrrev_i32_e32 v27, 31, v26
	v_add_co_u32_e32 v24, vcc, s2, v24
	v_lshlrev_b64 v[26:27], 2, v[26:27]
	v_addc_co_u32_e32 v25, vcc, v35, v25, vcc
	v_add_co_u32_e32 v26, vcc, s2, v26
	v_addc_co_u32_e32 v27, vcc, v35, v27, vcc
	s_mov_b64 s[16:17], 0
	s_mov_b64 s[18:19], s[14:15]
	v_mov_b32_e32 v37, v36
	v_mov_b32_e32 v38, v30
.LBB6_2:                                ;   Parent Loop BB6_1 Depth=1
                                        ; =>  This Inner Loop Header: Depth=2
	v_add_u32_e32 v28, v34, v37
	v_ashrrev_i32_e32 v29, 31, v28
	v_lshlrev_b64 v[39:40], 2, v[28:29]
	v_add_u32_e32 v28, 8, v28
	v_ashrrev_i32_e32 v29, 31, v28
	s_add_u32 s4, s12, s18
	v_add_co_u32_e32 v39, vcc, s0, v39
	v_mov_b32_e32 v41, s1
	v_lshlrev_b64 v[28:29], 2, v[28:29]
	s_addc_u32 s5, s13, s19
	v_addc_co_u32_e32 v40, vcc, v41, v40, vcc
	s_add_u32 s6, s4, 0xffffff3c
	v_add_co_u32_e32 v28, vcc, s0, v28
	s_addc_u32 s7, s5, -1
	v_addc_co_u32_e32 v29, vcc, v41, v29, vcc
	s_load_dword s25, s[6:7], 0x0
	s_load_dword s3, s[4:5], 0x0
	global_load_dword v39, v[39:40], off
	s_nop 0
	global_load_dword v40, v[28:29], off
	global_load_dword v44, v[0:1], off
	;; [unrolled: 1-line block ×3, first 2 shown]
	v_add_u32_e32 v28, v34, v38
	v_ashrrev_i32_e32 v29, 31, v28
	v_lshlrev_b64 v[42:43], 2, v[28:29]
	s_add_u32 s28, s12, s16
	v_add_co_u32_e32 v42, vcc, s0, v42
	v_addc_co_u32_e32 v43, vcc, v41, v43, vcc
	global_load_dword v29, v[42:43], off
	v_add_u32_e32 v42, 8, v28
	v_ashrrev_i32_e32 v43, 31, v42
	v_lshlrev_b64 v[42:43], 2, v[42:43]
	s_addc_u32 s29, s13, s17
	v_add_co_u32_e32 v42, vcc, s0, v42
	v_addc_co_u32_e32 v43, vcc, v41, v43, vcc
	s_load_dwordx4 s[4:7], s[28:29], 0x0
	s_load_dwordx2 s[20:21], s[28:29], 0x10
	s_load_dword s26, s[28:29], 0x18
	global_load_dword v42, v[42:43], off
	s_load_dword s27, s[28:29], 0xdc
	s_load_dwordx2 s[22:23], s[28:29], 0xd4
	s_load_dwordx4 s[8:11], s[28:29], 0xc4
	s_add_u32 s18, s18, 4
	s_addc_u32 s19, s19, 0
	s_add_u32 s16, s16, 28
	s_addc_u32 s17, s17, 0
	v_add_u32_e32 v38, 0x70, v38
	v_add_u32_e32 v37, 16, v37
	s_cmpk_eq_i32 s16, 0xc4
	s_waitcnt vmcnt(1) lgkmcnt(0)
	v_fma_f32 v45, -s25, v29, v45
	v_fmac_f32_e32 v45, s4, v39
	s_waitcnt vmcnt(0)
	v_fmac_f32_e32 v44, s25, v42
	v_fmac_f32_e32 v45, s3, v42
	v_fma_f32 v42, -v39, s8, v44
	v_fmac_f32_e32 v42, s3, v29
	v_fma_f32 v43, -v40, s8, v45
	v_fma_f32 v29, -v40, s4, v42
	v_add_u32_e32 v42, 16, v28
	global_store_dword v[0:1], v29, off
	global_store_dword v[2:3], v43, off
	v_ashrrev_i32_e32 v43, 31, v42
	v_lshlrev_b64 v[42:43], 2, v[42:43]
	global_load_dword v29, v[4:5], off
	global_load_dword v44, v[6:7], off
	v_add_co_u32_e32 v42, vcc, s0, v42
	v_addc_co_u32_e32 v43, vcc, v41, v43, vcc
	global_load_dword v45, v[42:43], off
	v_add_u32_e32 v42, 24, v28
	v_ashrrev_i32_e32 v43, 31, v42
	v_lshlrev_b64 v[42:43], 2, v[42:43]
	v_add_co_u32_e32 v42, vcc, s0, v42
	v_addc_co_u32_e32 v43, vcc, v41, v43, vcc
	global_load_dword v42, v[42:43], off
	s_waitcnt vmcnt(1)
	v_fma_f32 v44, -s25, v45, v44
	v_fmac_f32_e32 v44, s5, v39
	s_waitcnt vmcnt(0)
	v_fmac_f32_e32 v29, s25, v42
	v_fma_f32 v29, -v39, s9, v29
	v_fmac_f32_e32 v44, s3, v42
	v_fmac_f32_e32 v29, s3, v45
	v_fma_f32 v43, -v40, s9, v44
	v_fma_f32 v29, -v40, s5, v29
	v_add_u32_e32 v42, 32, v28
	global_store_dword v[4:5], v29, off
	global_store_dword v[6:7], v43, off
	v_ashrrev_i32_e32 v43, 31, v42
	v_lshlrev_b64 v[42:43], 2, v[42:43]
	global_load_dword v29, v[8:9], off
	global_load_dword v44, v[10:11], off
	v_add_co_u32_e32 v42, vcc, s0, v42
	v_addc_co_u32_e32 v43, vcc, v41, v43, vcc
	global_load_dword v45, v[42:43], off
	v_add_u32_e32 v42, 40, v28
	v_ashrrev_i32_e32 v43, 31, v42
	v_lshlrev_b64 v[42:43], 2, v[42:43]
	v_add_co_u32_e32 v42, vcc, s0, v42
	v_addc_co_u32_e32 v43, vcc, v41, v43, vcc
	global_load_dword v42, v[42:43], off
	s_waitcnt vmcnt(1)
	v_fma_f32 v44, -s25, v45, v44
	v_fmac_f32_e32 v44, s6, v39
	s_waitcnt vmcnt(0)
	v_fmac_f32_e32 v29, s25, v42
	v_fma_f32 v29, -v39, s10, v29
	v_fmac_f32_e32 v44, s3, v42
	;; [unrolled: 26-line block ×5, first 2 shown]
	v_fmac_f32_e32 v29, s3, v45
	v_fma_f32 v43, -v40, s23, v44
	v_fma_f32 v29, -v40, s21, v29
	v_add_u32_e32 v42, 0x60, v28
	global_store_dword v[20:21], v29, off
	global_store_dword v[22:23], v43, off
	v_ashrrev_i32_e32 v43, 31, v42
	v_lshlrev_b64 v[42:43], 2, v[42:43]
	global_load_dword v29, v[24:25], off
	global_load_dword v44, v[26:27], off
	v_add_co_u32_e32 v42, vcc, s0, v42
	v_addc_co_u32_e32 v43, vcc, v41, v43, vcc
	global_load_dword v42, v[42:43], off
	s_waitcnt vmcnt(0)
	v_fma_f32 v43, -s25, v42, v44
	v_add_u32_e32 v44, 0x68, v28
	v_ashrrev_i32_e32 v45, 31, v44
	v_lshlrev_b64 v[44:45], 2, v[44:45]
	v_fmac_f32_e32 v43, s26, v39
	v_add_co_u32_e32 v44, vcc, s0, v44
	v_addc_co_u32_e32 v45, vcc, v41, v45, vcc
	global_load_dword v28, v[44:45], off
	s_waitcnt vmcnt(0)
	v_fmac_f32_e32 v29, s25, v28
	v_fmac_f32_e32 v43, s3, v28
	v_fma_f32 v28, -v39, s27, v29
	v_fmac_f32_e32 v28, s3, v42
	v_fma_f32 v28, -v40, s26, v28
	v_fma_f32 v41, -v40, s27, v43
	global_store_dword v[24:25], v28, off
	global_store_dword v[26:27], v41, off
	s_cbranch_scc0 .LBB6_2
; %bb.3:                                ;   in Loop: Header=BB6_1 Depth=1
	s_add_i32 s24, s24, 1
	s_add_u32 s14, s14, 28
	s_addc_u32 s15, s15, 0
	s_cmp_eq_u32 s24, 7
	v_add_u32_e32 v36, 0x70, v36
	s_cbranch_scc0 .LBB6_1
; %bb.4:
	s_endpgm
	.section	.rodata,"a",@progbits
	.p2align	6, 0x0
	.amdhsa_kernel _Z31comm_aosoa_naive_constants_permPK15HIP_vector_typeIfLj2EEPS0_S2_
		.amdhsa_group_segment_fixed_size 0
		.amdhsa_private_segment_fixed_size 0
		.amdhsa_kernarg_size 280
		.amdhsa_user_sgpr_count 6
		.amdhsa_user_sgpr_private_segment_buffer 1
		.amdhsa_user_sgpr_dispatch_ptr 0
		.amdhsa_user_sgpr_queue_ptr 0
		.amdhsa_user_sgpr_kernarg_segment_ptr 1
		.amdhsa_user_sgpr_dispatch_id 0
		.amdhsa_user_sgpr_flat_scratch_init 0
		.amdhsa_user_sgpr_private_segment_size 0
		.amdhsa_uses_dynamic_stack 0
		.amdhsa_system_sgpr_private_segment_wavefront_offset 0
		.amdhsa_system_sgpr_workgroup_id_x 1
		.amdhsa_system_sgpr_workgroup_id_y 0
		.amdhsa_system_sgpr_workgroup_id_z 0
		.amdhsa_system_sgpr_workgroup_info 0
		.amdhsa_system_vgpr_workitem_id 0
		.amdhsa_next_free_vgpr 46
		.amdhsa_next_free_sgpr 30
		.amdhsa_reserve_vcc 1
		.amdhsa_reserve_flat_scratch 0
		.amdhsa_float_round_mode_32 0
		.amdhsa_float_round_mode_16_64 0
		.amdhsa_float_denorm_mode_32 3
		.amdhsa_float_denorm_mode_16_64 3
		.amdhsa_dx10_clamp 1
		.amdhsa_ieee_mode 1
		.amdhsa_fp16_overflow 0
		.amdhsa_exception_fp_ieee_invalid_op 0
		.amdhsa_exception_fp_denorm_src 0
		.amdhsa_exception_fp_ieee_div_zero 0
		.amdhsa_exception_fp_ieee_overflow 0
		.amdhsa_exception_fp_ieee_underflow 0
		.amdhsa_exception_fp_ieee_inexact 0
		.amdhsa_exception_int_div_zero 0
	.end_amdhsa_kernel
	.text
.Lfunc_end6:
	.size	_Z31comm_aosoa_naive_constants_permPK15HIP_vector_typeIfLj2EEPS0_S2_, .Lfunc_end6-_Z31comm_aosoa_naive_constants_permPK15HIP_vector_typeIfLj2EEPS0_S2_
                                        ; -- End function
	.set _Z31comm_aosoa_naive_constants_permPK15HIP_vector_typeIfLj2EEPS0_S2_.num_vgpr, 46
	.set _Z31comm_aosoa_naive_constants_permPK15HIP_vector_typeIfLj2EEPS0_S2_.num_agpr, 0
	.set _Z31comm_aosoa_naive_constants_permPK15HIP_vector_typeIfLj2EEPS0_S2_.numbered_sgpr, 30
	.set _Z31comm_aosoa_naive_constants_permPK15HIP_vector_typeIfLj2EEPS0_S2_.num_named_barrier, 0
	.set _Z31comm_aosoa_naive_constants_permPK15HIP_vector_typeIfLj2EEPS0_S2_.private_seg_size, 0
	.set _Z31comm_aosoa_naive_constants_permPK15HIP_vector_typeIfLj2EEPS0_S2_.uses_vcc, 1
	.set _Z31comm_aosoa_naive_constants_permPK15HIP_vector_typeIfLj2EEPS0_S2_.uses_flat_scratch, 0
	.set _Z31comm_aosoa_naive_constants_permPK15HIP_vector_typeIfLj2EEPS0_S2_.has_dyn_sized_stack, 0
	.set _Z31comm_aosoa_naive_constants_permPK15HIP_vector_typeIfLj2EEPS0_S2_.has_recursion, 0
	.set _Z31comm_aosoa_naive_constants_permPK15HIP_vector_typeIfLj2EEPS0_S2_.has_indirect_call, 0
	.section	.AMDGPU.csdata,"",@progbits
; Kernel info:
; codeLenInByte = 1828
; TotalNumSgprs: 34
; NumVgprs: 46
; ScratchSize: 0
; MemoryBound: 0
; FloatMode: 240
; IeeeMode: 1
; LDSByteSize: 0 bytes/workgroup (compile time only)
; SGPRBlocks: 4
; VGPRBlocks: 11
; NumSGPRsForWavesPerEU: 34
; NumVGPRsForWavesPerEU: 46
; Occupancy: 5
; WaveLimiterHint : 1
; COMPUTE_PGM_RSRC2:SCRATCH_EN: 0
; COMPUTE_PGM_RSRC2:USER_SGPR: 6
; COMPUTE_PGM_RSRC2:TRAP_HANDLER: 0
; COMPUTE_PGM_RSRC2:TGID_X_EN: 1
; COMPUTE_PGM_RSRC2:TGID_Y_EN: 0
; COMPUTE_PGM_RSRC2:TGID_Z_EN: 0
; COMPUTE_PGM_RSRC2:TIDIG_COMP_CNT: 0
	.text
	.protected	_Z23comm_aosoa_naive_directPK15HIP_vector_typeIfLj2EEPS0_S2_i ; -- Begin function _Z23comm_aosoa_naive_directPK15HIP_vector_typeIfLj2EEPS0_S2_i
	.globl	_Z23comm_aosoa_naive_directPK15HIP_vector_typeIfLj2EEPS0_S2_i
	.p2align	8
	.type	_Z23comm_aosoa_naive_directPK15HIP_vector_typeIfLj2EEPS0_S2_i,@function
_Z23comm_aosoa_naive_directPK15HIP_vector_typeIfLj2EEPS0_S2_i: ; @_Z23comm_aosoa_naive_directPK15HIP_vector_typeIfLj2EEPS0_S2_i
; %bb.0:
	s_load_dword s8, s[4:5], 0x18
	s_waitcnt lgkmcnt(0)
	s_cmp_lt_i32 s8, 1
	s_cbranch_scc1 .LBB7_7
; %bb.1:
	s_load_dword s7, s[4:5], 0x2c
	s_load_dwordx4 s[0:3], s[4:5], 0x0
	s_load_dwordx2 s[10:11], s[4:5], 0x10
	s_lshl_b32 s22, s8, 4
	s_mul_i32 s4, s22, s8
	s_waitcnt lgkmcnt(0)
	s_and_b32 s5, s7, 0xffff
	s_mul_i32 s6, s6, s5
	v_add_u32_e32 v4, s6, v0
	v_ashrrev_i32_e32 v0, 31, v4
	v_lshrrev_b32_e32 v0, 29, v0
	v_add_u32_e32 v0, v4, v0
	v_ashrrev_i32_e32 v1, 3, v0
	s_mul_i32 s23, s8, s8
	v_mul_lo_u32 v5, s4, v1
	s_lshl_b32 s4, s23, 4
	s_add_i32 s4, s4, -8
	v_mul_lo_u32 v8, v1, s4
	v_and_b32_e32 v0, -8, v0
	s_mov_b32 s5, 0
	v_sub_u32_e32 v6, v4, v0
	s_mov_b32 s9, s5
	v_add_u32_e32 v7, 8, v6
	s_lshl_b64 s[6:7], s[8:9], 2
	v_mov_b32_e32 v9, s3
	v_mov_b32_e32 v10, s1
	;; [unrolled: 1-line block ×3, first 2 shown]
	s_mov_b64 s[12:13], s[10:11]
	s_mov_b32 s1, s23
	s_mov_b32 s3, 0
.LBB7_2:                                ; =>This Loop Header: Depth=1
                                        ;     Child Loop BB7_3 Depth 2
                                        ;       Child Loop BB7_4 Depth 3
	s_mul_i32 s9, s3, s8
	v_mov_b32_e32 v12, v4
	s_mov_b64 s[14:15], s[10:11]
	s_mov_b32 s24, s23
	s_mov_b32 s25, s5
.LBB7_3:                                ;   Parent Loop BB7_2 Depth=1
                                        ; =>  This Loop Header: Depth=2
                                        ;       Child Loop BB7_4 Depth 3
	s_add_i32 s4, s25, s9
	v_lshl_add_u32 v2, s4, 4, v5
	v_add_u32_e32 v0, v7, v2
	v_ashrrev_i32_e32 v1, 31, v0
	v_lshlrev_b64 v[0:1], 2, v[0:1]
	v_add_u32_e32 v2, v2, v6
	v_ashrrev_i32_e32 v3, 31, v2
	v_add_co_u32_e32 v0, vcc, s2, v0
	v_lshlrev_b64 v[2:3], 2, v[2:3]
	v_addc_co_u32_e32 v1, vcc, v9, v1, vcc
	v_add_co_u32_e32 v2, vcc, s2, v2
	v_addc_co_u32_e32 v3, vcc, v9, v3, vcc
	global_load_dword v16, v[0:1], off
	global_load_dword v13, v[2:3], off
	s_mov_b32 s26, 0
	v_mov_b32_e32 v14, v11
	s_mov_b64 s[16:17], s[12:13]
	v_mov_b32_e32 v15, v12
	s_mov_b64 s[18:19], s[14:15]
	s_mov_b32 s20, s24
.LBB7_4:                                ;   Parent Loop BB7_2 Depth=1
                                        ;     Parent Loop BB7_3 Depth=2
                                        ; =>    This Inner Loop Header: Depth=3
	v_add_u32_e32 v17, v8, v15
	v_ashrrev_i32_e32 v18, 31, v17
	v_lshlrev_b64 v[18:19], 2, v[17:18]
	s_load_dword s27, s[16:17], 0x0
	v_add_co_u32_e32 v18, vcc, s0, v18
	v_addc_co_u32_e32 v19, vcc, v10, v19, vcc
	global_load_dword v21, v[18:19], off
	v_add_u32_e32 v18, v8, v14
	v_ashrrev_i32_e32 v19, 31, v18
	v_lshlrev_b64 v[19:20], 2, v[18:19]
	s_add_i32 s4, s1, s26
	v_add_co_u32_e32 v19, vcc, s0, v19
	v_addc_co_u32_e32 v20, vcc, v10, v20, vcc
	global_load_dword v19, v[19:20], off
	s_lshl_b64 s[28:29], s[4:5], 2
	s_add_u32 s28, s10, s28
	s_addc_u32 s29, s11, s29
	s_ashr_i32 s21, s20, 31
	s_load_dword s4, s[28:29], 0x0
	s_lshl_b64 s[28:29], s[20:21], 2
	s_add_u32 s28, s10, s28
	s_addc_u32 s29, s11, s29
	s_load_dword s30, s[18:19], 0x0
	s_load_dword s21, s[28:29], 0x0
	s_add_i32 s26, s26, 1
	s_add_i32 s20, s20, s8
	s_add_u32 s18, s18, s6
	s_addc_u32 s19, s19, s7
	s_add_u32 s16, s16, 4
	s_addc_u32 s17, s17, 0
	v_add_u32_e32 v15, s22, v15
	v_add_u32_e32 v14, 16, v14
	s_cmp_eq_u32 s8, s26
	s_waitcnt vmcnt(1) lgkmcnt(0)
	v_fma_f32 v22, -s27, v21, v16
	v_add_u32_e32 v16, 8, v17
	v_ashrrev_i32_e32 v17, 31, v16
	v_lshlrev_b64 v[16:17], 2, v[16:17]
	v_add_co_u32_e32 v16, vcc, s0, v16
	v_addc_co_u32_e32 v17, vcc, v10, v17, vcc
	global_load_dword v20, v[16:17], off
	v_add_u32_e32 v16, 8, v18
	v_ashrrev_i32_e32 v17, 31, v16
	v_lshlrev_b64 v[16:17], 2, v[16:17]
	s_waitcnt vmcnt(1)
	v_fmac_f32_e32 v22, s30, v19
	v_add_co_u32_e32 v16, vcc, s0, v16
	v_addc_co_u32_e32 v17, vcc, v10, v17, vcc
	global_load_dword v17, v[16:17], off
	s_waitcnt vmcnt(1)
	v_fmac_f32_e32 v13, s27, v20
	v_fma_f32 v13, -v19, s21, v13
	v_fmac_f32_e32 v22, s4, v20
	v_fmac_f32_e32 v13, s4, v21
	s_waitcnt vmcnt(0)
	v_fma_f32 v16, -v17, s21, v22
	v_fma_f32 v13, -s30, v17, v13
	s_cbranch_scc0 .LBB7_4
; %bb.5:                                ;   in Loop: Header=BB7_3 Depth=2
	s_add_i32 s25, s25, 1
	s_add_i32 s24, s24, 1
	s_add_u32 s14, s14, 4
	s_addc_u32 s15, s15, 0
	s_cmp_eq_u32 s25, s8
	v_add_u32_e32 v12, 16, v12
	global_store_dword v[0:1], v16, off
	global_store_dword v[2:3], v13, off
	s_cbranch_scc0 .LBB7_3
; %bb.6:                                ;   in Loop: Header=BB7_2 Depth=1
	s_add_i32 s3, s3, 1
	s_add_i32 s1, s1, s8
	s_add_u32 s12, s12, s6
	s_addc_u32 s13, s13, s7
	s_cmp_eq_u32 s3, s8
	v_add_u32_e32 v11, s22, v11
	s_cbranch_scc0 .LBB7_2
.LBB7_7:
	s_endpgm
	.section	.rodata,"a",@progbits
	.p2align	6, 0x0
	.amdhsa_kernel _Z23comm_aosoa_naive_directPK15HIP_vector_typeIfLj2EEPS0_S2_i
		.amdhsa_group_segment_fixed_size 0
		.amdhsa_private_segment_fixed_size 0
		.amdhsa_kernarg_size 288
		.amdhsa_user_sgpr_count 6
		.amdhsa_user_sgpr_private_segment_buffer 1
		.amdhsa_user_sgpr_dispatch_ptr 0
		.amdhsa_user_sgpr_queue_ptr 0
		.amdhsa_user_sgpr_kernarg_segment_ptr 1
		.amdhsa_user_sgpr_dispatch_id 0
		.amdhsa_user_sgpr_flat_scratch_init 0
		.amdhsa_user_sgpr_private_segment_size 0
		.amdhsa_uses_dynamic_stack 0
		.amdhsa_system_sgpr_private_segment_wavefront_offset 0
		.amdhsa_system_sgpr_workgroup_id_x 1
		.amdhsa_system_sgpr_workgroup_id_y 0
		.amdhsa_system_sgpr_workgroup_id_z 0
		.amdhsa_system_sgpr_workgroup_info 0
		.amdhsa_system_vgpr_workitem_id 0
		.amdhsa_next_free_vgpr 23
		.amdhsa_next_free_sgpr 31
		.amdhsa_reserve_vcc 1
		.amdhsa_reserve_flat_scratch 0
		.amdhsa_float_round_mode_32 0
		.amdhsa_float_round_mode_16_64 0
		.amdhsa_float_denorm_mode_32 3
		.amdhsa_float_denorm_mode_16_64 3
		.amdhsa_dx10_clamp 1
		.amdhsa_ieee_mode 1
		.amdhsa_fp16_overflow 0
		.amdhsa_exception_fp_ieee_invalid_op 0
		.amdhsa_exception_fp_denorm_src 0
		.amdhsa_exception_fp_ieee_div_zero 0
		.amdhsa_exception_fp_ieee_overflow 0
		.amdhsa_exception_fp_ieee_underflow 0
		.amdhsa_exception_fp_ieee_inexact 0
		.amdhsa_exception_int_div_zero 0
	.end_amdhsa_kernel
	.text
.Lfunc_end7:
	.size	_Z23comm_aosoa_naive_directPK15HIP_vector_typeIfLj2EEPS0_S2_i, .Lfunc_end7-_Z23comm_aosoa_naive_directPK15HIP_vector_typeIfLj2EEPS0_S2_i
                                        ; -- End function
	.set _Z23comm_aosoa_naive_directPK15HIP_vector_typeIfLj2EEPS0_S2_i.num_vgpr, 23
	.set _Z23comm_aosoa_naive_directPK15HIP_vector_typeIfLj2EEPS0_S2_i.num_agpr, 0
	.set _Z23comm_aosoa_naive_directPK15HIP_vector_typeIfLj2EEPS0_S2_i.numbered_sgpr, 31
	.set _Z23comm_aosoa_naive_directPK15HIP_vector_typeIfLj2EEPS0_S2_i.num_named_barrier, 0
	.set _Z23comm_aosoa_naive_directPK15HIP_vector_typeIfLj2EEPS0_S2_i.private_seg_size, 0
	.set _Z23comm_aosoa_naive_directPK15HIP_vector_typeIfLj2EEPS0_S2_i.uses_vcc, 1
	.set _Z23comm_aosoa_naive_directPK15HIP_vector_typeIfLj2EEPS0_S2_i.uses_flat_scratch, 0
	.set _Z23comm_aosoa_naive_directPK15HIP_vector_typeIfLj2EEPS0_S2_i.has_dyn_sized_stack, 0
	.set _Z23comm_aosoa_naive_directPK15HIP_vector_typeIfLj2EEPS0_S2_i.has_recursion, 0
	.set _Z23comm_aosoa_naive_directPK15HIP_vector_typeIfLj2EEPS0_S2_i.has_indirect_call, 0
	.section	.AMDGPU.csdata,"",@progbits
; Kernel info:
; codeLenInByte = 656
; TotalNumSgprs: 35
; NumVgprs: 23
; ScratchSize: 0
; MemoryBound: 0
; FloatMode: 240
; IeeeMode: 1
; LDSByteSize: 0 bytes/workgroup (compile time only)
; SGPRBlocks: 4
; VGPRBlocks: 5
; NumSGPRsForWavesPerEU: 35
; NumVGPRsForWavesPerEU: 23
; Occupancy: 10
; WaveLimiterHint : 0
; COMPUTE_PGM_RSRC2:SCRATCH_EN: 0
; COMPUTE_PGM_RSRC2:USER_SGPR: 6
; COMPUTE_PGM_RSRC2:TRAP_HANDLER: 0
; COMPUTE_PGM_RSRC2:TGID_X_EN: 1
; COMPUTE_PGM_RSRC2:TGID_Y_EN: 0
; COMPUTE_PGM_RSRC2:TGID_Z_EN: 0
; COMPUTE_PGM_RSRC2:TIDIG_COMP_CNT: 0
	.text
	.protected	_Z33comm_aosoa_naive_constants_directPK15HIP_vector_typeIfLj2EEPS0_S2_ ; -- Begin function _Z33comm_aosoa_naive_constants_directPK15HIP_vector_typeIfLj2EEPS0_S2_
	.globl	_Z33comm_aosoa_naive_constants_directPK15HIP_vector_typeIfLj2EEPS0_S2_
	.p2align	8
	.type	_Z33comm_aosoa_naive_constants_directPK15HIP_vector_typeIfLj2EEPS0_S2_,@function
_Z33comm_aosoa_naive_constants_directPK15HIP_vector_typeIfLj2EEPS0_S2_: ; @_Z33comm_aosoa_naive_constants_directPK15HIP_vector_typeIfLj2EEPS0_S2_
; %bb.0:
	s_load_dword s7, s[4:5], 0x24
	s_load_dwordx4 s[0:3], s[4:5], 0x0
	s_load_dwordx2 s[12:13], s[4:5], 0x10
	s_mov_b32 s17, 0
	s_mov_b32 s24, 0
	s_waitcnt lgkmcnt(0)
	s_and_b32 s4, s7, 0xffff
	s_mul_i32 s6, s6, s4
	v_add_u32_e32 v0, s6, v0
	v_ashrrev_i32_e32 v1, 31, v0
	v_lshrrev_b32_e32 v1, 29, v1
	v_add_u32_e32 v1, v0, v1
	v_ashrrev_i32_e32 v2, 3, v1
	s_movk_i32 s4, 0x310
	v_mul_lo_u32 v7, v2, s4
	v_and_b32_e32 v1, -8, v1
	s_movk_i32 s4, 0x308
	v_sub_u32_e32 v8, v0, v1
	v_mad_u64_u32 v[0:1], s[4:5], v2, s4, v[0:1]
	s_add_u32 s14, s12, 0x16c
	v_add_u32_e32 v9, 8, v8
	s_addc_u32 s15, s13, 0
	v_mov_b32_e32 v10, s1
	v_mov_b32_e32 v11, v0
.LBB8_1:                                ; =>This Loop Header: Depth=1
                                        ;     Child Loop BB8_2 Depth 2
	s_mul_i32 s16, s24, 7
	s_lshl_b64 s[4:5], s[16:17], 2
	s_add_u32 s22, s12, s4
	s_mul_i32 s4, s24, 0x70
	v_add_u32_e32 v3, s4, v7
	v_add_u32_e32 v1, v3, v8
	v_ashrrev_i32_e32 v2, 31, v1
	s_addc_u32 s23, s13, s5
	v_lshlrev_b64 v[1:2], 2, v[1:2]
	v_add_u32_e32 v3, v9, v3
	s_lshl_b32 s4, s16, 4
	v_ashrrev_i32_e32 v4, 31, v3
	v_add3_u32 v12, s4, 16, v7
	v_add_co_u32_e32 v1, vcc, s0, v1
	v_lshlrev_b64 v[3:4], 2, v[3:4]
	v_add_u32_e32 v5, v12, v8
	v_addc_co_u32_e32 v2, vcc, v10, v2, vcc
	v_ashrrev_i32_e32 v6, 31, v5
	v_add_co_u32_e32 v3, vcc, s0, v3
	v_lshlrev_b64 v[5:6], 2, v[5:6]
	v_add_u32_e32 v12, v9, v12
	v_addc_co_u32_e32 v4, vcc, v10, v4, vcc
	v_ashrrev_i32_e32 v13, 31, v12
	v_add_co_u32_e32 v5, vcc, s0, v5
	v_lshlrev_b64 v[12:13], 2, v[12:13]
	v_addc_co_u32_e32 v6, vcc, v10, v6, vcc
	v_add3_u32 v14, s4, 32, v7
	v_add_co_u32_e32 v20, vcc, s0, v12
	v_add_u32_e32 v12, v14, v8
	v_addc_co_u32_e32 v21, vcc, v10, v13, vcc
	v_ashrrev_i32_e32 v13, 31, v12
	v_lshlrev_b64 v[12:13], 2, v[12:13]
	s_add_i32 s5, s4, 0x50
	v_add_co_u32_e32 v22, vcc, s0, v12
	v_add_u32_e32 v12, v9, v14
	v_addc_co_u32_e32 v23, vcc, v10, v13, vcc
	v_ashrrev_i32_e32 v13, 31, v12
	v_lshlrev_b64 v[12:13], 2, v[12:13]
	v_add3_u32 v14, s4, 48, v7
	v_add_co_u32_e32 v24, vcc, s0, v12
	v_add_u32_e32 v12, v14, v8
	v_addc_co_u32_e32 v25, vcc, v10, v13, vcc
	v_ashrrev_i32_e32 v13, 31, v12
	v_lshlrev_b64 v[12:13], 2, v[12:13]
	s_mov_b32 s26, 0
	v_add_co_u32_e32 v26, vcc, s0, v12
	v_add_u32_e32 v12, v9, v14
	v_addc_co_u32_e32 v27, vcc, v10, v13, vcc
	v_ashrrev_i32_e32 v13, 31, v12
	v_lshlrev_b64 v[12:13], 2, v[12:13]
	v_add_co_u32_e32 v28, vcc, s0, v12
	v_addc_co_u32_e32 v29, vcc, v10, v13, vcc
	global_load_dword v12, v[1:2], off
	global_load_dword v13, v[3:4], off
	global_load_dword v14, v[5:6], off
	global_load_dword v15, v[20:21], off
	global_load_dword v16, v[22:23], off
	global_load_dword v17, v[24:25], off
	global_load_dword v18, v[26:27], off
	global_load_dword v19, v[28:29], off
	v_add3_u32 v3, s4, 64, v7
	v_add_u32_e32 v1, v3, v8
	v_ashrrev_i32_e32 v2, 31, v1
	v_lshlrev_b64 v[1:2], 2, v[1:2]
	v_add_u32_e32 v3, v9, v3
	v_ashrrev_i32_e32 v4, 31, v3
	v_add_u32_e32 v20, s5, v7
	v_add_co_u32_e32 v1, vcc, s0, v1
	v_lshlrev_b64 v[3:4], 2, v[3:4]
	v_add_u32_e32 v5, v20, v8
	v_addc_co_u32_e32 v2, vcc, v10, v2, vcc
	v_ashrrev_i32_e32 v6, 31, v5
	v_add_co_u32_e32 v3, vcc, s0, v3
	v_lshlrev_b64 v[5:6], 2, v[5:6]
	v_add_u32_e32 v20, v9, v20
	v_addc_co_u32_e32 v4, vcc, v10, v4, vcc
	v_ashrrev_i32_e32 v21, 31, v20
	v_add_co_u32_e32 v5, vcc, s0, v5
	v_lshlrev_b64 v[20:21], 2, v[20:21]
	s_addk_i32 s4, 0x60
	v_addc_co_u32_e32 v6, vcc, v10, v6, vcc
	v_add_u32_e32 v22, s4, v7
	v_add_co_u32_e32 v26, vcc, s0, v20
	v_add_u32_e32 v20, v22, v8
	v_addc_co_u32_e32 v27, vcc, v10, v21, vcc
	v_ashrrev_i32_e32 v21, 31, v20
	v_lshlrev_b64 v[20:21], 2, v[20:21]
	v_add_co_u32_e32 v28, vcc, s0, v20
	v_add_u32_e32 v20, v9, v22
	v_addc_co_u32_e32 v29, vcc, v10, v21, vcc
	v_ashrrev_i32_e32 v21, 31, v20
	v_lshlrev_b64 v[20:21], 2, v[20:21]
	v_add_co_u32_e32 v30, vcc, s0, v20
	v_addc_co_u32_e32 v31, vcc, v10, v21, vcc
	global_load_dword v20, v[1:2], off
	global_load_dword v21, v[3:4], off
	;; [unrolled: 1-line block ×6, first 2 shown]
	s_load_dwordx4 s[4:7], s[22:23], 0x0
	s_load_dwordx2 s[18:19], s[22:23], 0x10
	s_load_dword s16, s[22:23], 0x18
	s_load_dwordx4 s[8:11], s[22:23], 0xc4
	s_load_dwordx2 s[20:21], s[22:23], 0xd4
	s_load_dword s25, s[22:23], 0xdc
	s_mov_b64 s[22:23], s[14:15]
.LBB8_2:                                ;   Parent Loop BB8_1 Depth=1
                                        ; =>  This Inner Loop Header: Depth=2
	v_add_u32_e32 v3, s26, v11
	v_add_u32_e32 v1, 8, v3
	v_ashrrev_i32_e32 v2, 31, v1
	v_lshlrev_b64 v[1:2], 2, v[1:2]
	v_ashrrev_i32_e32 v4, 31, v3
	v_add_co_u32_e32 v1, vcc, s2, v1
	v_mov_b32_e32 v5, s3
	v_lshlrev_b64 v[3:4], 2, v[3:4]
	v_addc_co_u32_e32 v2, vcc, v5, v2, vcc
	v_add_co_u32_e32 v3, vcc, s2, v3
	v_addc_co_u32_e32 v4, vcc, v5, v4, vcc
	v_add_u32_e32 v5, s26, v0
	v_ashrrev_i32_e32 v6, 31, v5
	v_lshlrev_b64 v[26:27], 2, v[5:6]
	v_mov_b32_e32 v6, s1
	v_add_co_u32_e32 v26, vcc, s0, v26
	v_addc_co_u32_e32 v27, vcc, v6, v27, vcc
	global_load_dword v28, v[1:2], off
	global_load_dword v29, v[3:4], off
	;; [unrolled: 1-line block ×3, first 2 shown]
	v_add_u32_e32 v26, 8, v5
	v_ashrrev_i32_e32 v27, 31, v26
	v_lshlrev_b64 v[26:27], 2, v[26:27]
	s_add_u32 s28, s22, 0xfffffe94
	v_add_co_u32_e32 v26, vcc, s0, v26
	v_addc_co_u32_e32 v27, vcc, v6, v27, vcc
	global_load_dword v26, v[26:27], off
	s_addc_u32 s29, s23, -1
	s_load_dword s27, s[28:29], 0x0
	s_add_u32 s28, s22, 0xffffff58
	s_addc_u32 s29, s23, -1
	s_load_dword s28, s[28:29], 0x0
	s_waitcnt vmcnt(1) lgkmcnt(0)
	v_fma_f32 v28, -s4, v30, v28
	v_fmac_f32_e32 v28, s27, v12
	s_waitcnt vmcnt(0)
	v_fmac_f32_e32 v29, s4, v26
	v_fmac_f32_e32 v28, s8, v26
	v_fma_f32 v26, -v12, s28, v29
	v_fmac_f32_e32 v26, s8, v30
	v_fma_f32 v29, -s27, v13, v26
	v_add_u32_e32 v26, 0x70, v5
	v_ashrrev_i32_e32 v27, 31, v26
	v_lshlrev_b64 v[26:27], 2, v[26:27]
	v_fma_f32 v28, -v13, s28, v28
	v_add_co_u32_e32 v26, vcc, s0, v26
	v_addc_co_u32_e32 v27, vcc, v6, v27, vcc
	global_load_dword v30, v[26:27], off
	v_add_u32_e32 v26, 0x78, v5
	v_ashrrev_i32_e32 v27, 31, v26
	v_lshlrev_b64 v[26:27], 2, v[26:27]
	s_add_u32 s28, s22, 0xfffffeb0
	v_add_co_u32_e32 v26, vcc, s0, v26
	v_addc_co_u32_e32 v27, vcc, v6, v27, vcc
	global_load_dword v26, v[26:27], off
	s_addc_u32 s29, s23, -1
	s_load_dword s27, s[28:29], 0x0
	s_add_u32 s28, s22, 0xffffff74
	s_addc_u32 s29, s23, -1
	s_load_dword s28, s[28:29], 0x0
	s_waitcnt vmcnt(1)
	v_fma_f32 v28, -s5, v30, v28
	s_waitcnt lgkmcnt(0)
	v_fmac_f32_e32 v28, s27, v14
	s_waitcnt vmcnt(0)
	v_fmac_f32_e32 v29, s5, v26
	v_fmac_f32_e32 v28, s9, v26
	v_fma_f32 v26, -v14, s28, v29
	v_fmac_f32_e32 v26, s9, v30
	v_fma_f32 v29, -s27, v15, v26
	v_add_u32_e32 v26, 0xe0, v5
	v_ashrrev_i32_e32 v27, 31, v26
	v_lshlrev_b64 v[26:27], 2, v[26:27]
	v_fma_f32 v28, -v15, s28, v28
	v_add_co_u32_e32 v26, vcc, s0, v26
	v_addc_co_u32_e32 v27, vcc, v6, v27, vcc
	global_load_dword v30, v[26:27], off
	v_add_u32_e32 v26, 0xe8, v5
	v_ashrrev_i32_e32 v27, 31, v26
	v_lshlrev_b64 v[26:27], 2, v[26:27]
	s_add_u32 s28, s22, 0xfffffecc
	v_add_co_u32_e32 v26, vcc, s0, v26
	v_addc_co_u32_e32 v27, vcc, v6, v27, vcc
	global_load_dword v26, v[26:27], off
	s_addc_u32 s29, s23, -1
	s_load_dword s27, s[28:29], 0x0
	s_add_u32 s28, s22, 0xffffff90
	s_addc_u32 s29, s23, -1
	s_load_dword s28, s[28:29], 0x0
	s_waitcnt vmcnt(1)
	v_fma_f32 v28, -s6, v30, v28
	s_waitcnt lgkmcnt(0)
	;; [unrolled: 29-line block ×4, first 2 shown]
	v_fmac_f32_e32 v28, s27, v20
	s_waitcnt vmcnt(0)
	v_fmac_f32_e32 v29, s18, v26
	v_fmac_f32_e32 v28, s20, v26
	v_fma_f32 v26, -v20, s28, v29
	v_fmac_f32_e32 v26, s20, v30
	v_fma_f32 v29, -s27, v21, v26
	v_add_u32_e32 v26, 0x230, v5
	v_ashrrev_i32_e32 v27, 31, v26
	v_lshlrev_b64 v[26:27], 2, v[26:27]
	v_fma_f32 v28, -v21, s28, v28
	v_add_co_u32_e32 v26, vcc, s0, v26
	v_addc_co_u32_e32 v27, vcc, v6, v27, vcc
	global_load_dword v30, v[26:27], off
	v_add_u32_e32 v26, 0x238, v5
	v_ashrrev_i32_e32 v27, 31, v26
	v_lshlrev_b64 v[26:27], 2, v[26:27]
	s_add_u32 s28, s22, 0xffffff20
	v_add_co_u32_e32 v26, vcc, s0, v26
	v_addc_co_u32_e32 v27, vcc, v6, v27, vcc
	global_load_dword v26, v[26:27], off
	s_addc_u32 s29, s23, -1
	s_load_dword s27, s[28:29], 0x0
	s_add_u32 s28, s22, 0xffffffe4
	s_addc_u32 s29, s23, -1
	s_load_dword s28, s[28:29], 0x0
	v_add_u32_e32 v27, 0x2a0, v5
	s_waitcnt vmcnt(1)
	v_fma_f32 v28, -s19, v30, v28
	s_waitcnt lgkmcnt(0)
	v_fmac_f32_e32 v28, s27, v22
	s_waitcnt vmcnt(0)
	v_fmac_f32_e32 v28, s21, v26
	v_fma_f32 v31, -v23, s28, v28
	v_ashrrev_i32_e32 v28, 31, v27
	v_lshlrev_b64 v[27:28], 2, v[27:28]
	v_fmac_f32_e32 v29, s19, v26
	v_add_co_u32_e32 v27, vcc, s0, v27
	v_addc_co_u32_e32 v28, vcc, v6, v28, vcc
	v_fma_f32 v26, -v22, s28, v29
	global_load_dword v29, v[27:28], off
	v_add_u32_e32 v27, 0x2a8, v5
	v_ashrrev_i32_e32 v28, 31, v27
	v_lshlrev_b64 v[27:28], 2, v[27:28]
	s_add_u32 s28, s22, 0xffffff3c
	v_add_co_u32_e32 v5, vcc, s0, v27
	v_addc_co_u32_e32 v6, vcc, v6, v28, vcc
	global_load_dword v5, v[5:6], off
	v_fmac_f32_e32 v26, s21, v30
	s_addc_u32 s29, s23, -1
	v_fma_f32 v26, -s27, v23, v26
	s_load_dword s27, s[28:29], 0x0
	s_add_i32 s26, s26, 16
	s_load_dword s28, s[22:23], 0x0
	s_add_u32 s22, s22, 4
	s_addc_u32 s23, s23, 0
	s_cmpk_lg_i32 s26, 0x70
	s_waitcnt vmcnt(1)
	v_fma_f32 v30, -s16, v29, v31
	s_waitcnt lgkmcnt(0)
	v_fmac_f32_e32 v30, s27, v24
	s_waitcnt vmcnt(0)
	v_fmac_f32_e32 v26, s16, v5
	v_fmac_f32_e32 v30, s25, v5
	v_fma_f32 v5, -v24, s28, v26
	v_fma_f32 v6, -v25, s28, v30
	v_fmac_f32_e32 v5, s25, v29
	v_fma_f32 v5, -s27, v25, v5
	global_store_dword v[1:2], v6, off
	global_store_dword v[3:4], v5, off
	s_cbranch_scc1 .LBB8_2
; %bb.3:                                ;   in Loop: Header=BB8_1 Depth=1
	s_add_i32 s24, s24, 1
	s_cmp_eq_u32 s24, 7
	v_add_u32_e32 v11, 0x70, v11
	s_cbranch_scc0 .LBB8_1
; %bb.4:
	s_endpgm
	.section	.rodata,"a",@progbits
	.p2align	6, 0x0
	.amdhsa_kernel _Z33comm_aosoa_naive_constants_directPK15HIP_vector_typeIfLj2EEPS0_S2_
		.amdhsa_group_segment_fixed_size 0
		.amdhsa_private_segment_fixed_size 0
		.amdhsa_kernarg_size 280
		.amdhsa_user_sgpr_count 6
		.amdhsa_user_sgpr_private_segment_buffer 1
		.amdhsa_user_sgpr_dispatch_ptr 0
		.amdhsa_user_sgpr_queue_ptr 0
		.amdhsa_user_sgpr_kernarg_segment_ptr 1
		.amdhsa_user_sgpr_dispatch_id 0
		.amdhsa_user_sgpr_flat_scratch_init 0
		.amdhsa_user_sgpr_private_segment_size 0
		.amdhsa_uses_dynamic_stack 0
		.amdhsa_system_sgpr_private_segment_wavefront_offset 0
		.amdhsa_system_sgpr_workgroup_id_x 1
		.amdhsa_system_sgpr_workgroup_id_y 0
		.amdhsa_system_sgpr_workgroup_id_z 0
		.amdhsa_system_sgpr_workgroup_info 0
		.amdhsa_system_vgpr_workitem_id 0
		.amdhsa_next_free_vgpr 32
		.amdhsa_next_free_sgpr 30
		.amdhsa_reserve_vcc 1
		.amdhsa_reserve_flat_scratch 0
		.amdhsa_float_round_mode_32 0
		.amdhsa_float_round_mode_16_64 0
		.amdhsa_float_denorm_mode_32 3
		.amdhsa_float_denorm_mode_16_64 3
		.amdhsa_dx10_clamp 1
		.amdhsa_ieee_mode 1
		.amdhsa_fp16_overflow 0
		.amdhsa_exception_fp_ieee_invalid_op 0
		.amdhsa_exception_fp_denorm_src 0
		.amdhsa_exception_fp_ieee_div_zero 0
		.amdhsa_exception_fp_ieee_overflow 0
		.amdhsa_exception_fp_ieee_underflow 0
		.amdhsa_exception_fp_ieee_inexact 0
		.amdhsa_exception_int_div_zero 0
	.end_amdhsa_kernel
	.text
.Lfunc_end8:
	.size	_Z33comm_aosoa_naive_constants_directPK15HIP_vector_typeIfLj2EEPS0_S2_, .Lfunc_end8-_Z33comm_aosoa_naive_constants_directPK15HIP_vector_typeIfLj2EEPS0_S2_
                                        ; -- End function
	.set _Z33comm_aosoa_naive_constants_directPK15HIP_vector_typeIfLj2EEPS0_S2_.num_vgpr, 32
	.set _Z33comm_aosoa_naive_constants_directPK15HIP_vector_typeIfLj2EEPS0_S2_.num_agpr, 0
	.set _Z33comm_aosoa_naive_constants_directPK15HIP_vector_typeIfLj2EEPS0_S2_.numbered_sgpr, 30
	.set _Z33comm_aosoa_naive_constants_directPK15HIP_vector_typeIfLj2EEPS0_S2_.num_named_barrier, 0
	.set _Z33comm_aosoa_naive_constants_directPK15HIP_vector_typeIfLj2EEPS0_S2_.private_seg_size, 0
	.set _Z33comm_aosoa_naive_constants_directPK15HIP_vector_typeIfLj2EEPS0_S2_.uses_vcc, 1
	.set _Z33comm_aosoa_naive_constants_directPK15HIP_vector_typeIfLj2EEPS0_S2_.uses_flat_scratch, 0
	.set _Z33comm_aosoa_naive_constants_directPK15HIP_vector_typeIfLj2EEPS0_S2_.has_dyn_sized_stack, 0
	.set _Z33comm_aosoa_naive_constants_directPK15HIP_vector_typeIfLj2EEPS0_S2_.has_recursion, 0
	.set _Z33comm_aosoa_naive_constants_directPK15HIP_vector_typeIfLj2EEPS0_S2_.has_indirect_call, 0
	.section	.AMDGPU.csdata,"",@progbits
; Kernel info:
; codeLenInByte = 2024
; TotalNumSgprs: 34
; NumVgprs: 32
; ScratchSize: 0
; MemoryBound: 0
; FloatMode: 240
; IeeeMode: 1
; LDSByteSize: 0 bytes/workgroup (compile time only)
; SGPRBlocks: 4
; VGPRBlocks: 7
; NumSGPRsForWavesPerEU: 34
; NumVGPRsForWavesPerEU: 32
; Occupancy: 8
; WaveLimiterHint : 0
; COMPUTE_PGM_RSRC2:SCRATCH_EN: 0
; COMPUTE_PGM_RSRC2:USER_SGPR: 6
; COMPUTE_PGM_RSRC2:TRAP_HANDLER: 0
; COMPUTE_PGM_RSRC2:TGID_X_EN: 1
; COMPUTE_PGM_RSRC2:TGID_Y_EN: 0
; COMPUTE_PGM_RSRC2:TGID_Z_EN: 0
; COMPUTE_PGM_RSRC2:TIDIG_COMP_CNT: 0
	.text
	.protected	_Z38comm_aosoa_naive_constants_direct_permPK15HIP_vector_typeIfLj2EEPS0_S2_ ; -- Begin function _Z38comm_aosoa_naive_constants_direct_permPK15HIP_vector_typeIfLj2EEPS0_S2_
	.globl	_Z38comm_aosoa_naive_constants_direct_permPK15HIP_vector_typeIfLj2EEPS0_S2_
	.p2align	8
	.type	_Z38comm_aosoa_naive_constants_direct_permPK15HIP_vector_typeIfLj2EEPS0_S2_,@function
_Z38comm_aosoa_naive_constants_direct_permPK15HIP_vector_typeIfLj2EEPS0_S2_: ; @_Z38comm_aosoa_naive_constants_direct_permPK15HIP_vector_typeIfLj2EEPS0_S2_
; %bb.0:
	s_load_dword s7, s[4:5], 0x24
	s_load_dwordx4 s[0:3], s[4:5], 0x0
	s_load_dwordx2 s[12:13], s[4:5], 0x10
	s_mov_b32 s24, 0
	s_mov_b64 s[14:15], 0xc4
	s_waitcnt lgkmcnt(0)
	s_and_b32 s4, s7, 0xffff
	s_mul_i32 s6, s6, s4
	v_add_u32_e32 v30, s6, v0
	v_ashrrev_i32_e32 v0, 31, v30
	v_lshrrev_b32_e32 v0, 29, v0
	v_add_u32_e32 v0, v30, v0
	v_ashrrev_i32_e32 v1, 3, v0
	s_movk_i32 s4, 0x310
	v_mul_lo_u32 v31, v1, s4
	s_movk_i32 s4, 0x308
	v_mul_lo_u32 v34, v1, s4
	v_and_b32_e32 v0, -8, v0
	v_sub_u32_e32 v32, v30, v0
	v_add_u32_e32 v33, 8, v32
	v_mov_b32_e32 v35, s3
	v_mov_b32_e32 v36, v30
.LBB9_1:                                ; =>This Loop Header: Depth=1
                                        ;     Child Loop BB9_2 Depth 2
	s_mul_i32 s3, s24, 0x70
	v_add_u32_e32 v24, s3, v31
	v_add_u32_e32 v0, v33, v24
	v_ashrrev_i32_e32 v1, 31, v0
	v_lshlrev_b64 v[0:1], 2, v[0:1]
	v_add_u32_e32 v2, v24, v32
	v_ashrrev_i32_e32 v3, 31, v2
	v_add_u32_e32 v6, 16, v24
	v_add_co_u32_e32 v0, vcc, s2, v0
	v_lshlrev_b64 v[2:3], 2, v[2:3]
	v_add_u32_e32 v4, v33, v6
	v_addc_co_u32_e32 v1, vcc, v35, v1, vcc
	v_ashrrev_i32_e32 v5, 31, v4
	v_add_co_u32_e32 v2, vcc, s2, v2
	v_lshlrev_b64 v[4:5], 2, v[4:5]
	v_add_u32_e32 v6, v6, v32
	v_addc_co_u32_e32 v3, vcc, v35, v3, vcc
	v_ashrrev_i32_e32 v7, 31, v6
	v_add_u32_e32 v10, 32, v24
	v_add_co_u32_e32 v4, vcc, s2, v4
	v_lshlrev_b64 v[6:7], 2, v[6:7]
	v_add_u32_e32 v8, v33, v10
	v_addc_co_u32_e32 v5, vcc, v35, v5, vcc
	v_ashrrev_i32_e32 v9, 31, v8
	v_add_co_u32_e32 v6, vcc, s2, v6
	v_lshlrev_b64 v[8:9], 2, v[8:9]
	v_add_u32_e32 v10, v10, v32
	v_addc_co_u32_e32 v7, vcc, v35, v7, vcc
	;; [unrolled: 11-line block ×6, first 2 shown]
	v_ashrrev_i32_e32 v27, 31, v26
	v_add_co_u32_e32 v24, vcc, s2, v24
	v_lshlrev_b64 v[26:27], 2, v[26:27]
	v_addc_co_u32_e32 v25, vcc, v35, v25, vcc
	v_add_co_u32_e32 v26, vcc, s2, v26
	v_addc_co_u32_e32 v27, vcc, v35, v27, vcc
	s_mov_b64 s[16:17], 0
	s_mov_b64 s[18:19], s[14:15]
	v_mov_b32_e32 v37, v36
	v_mov_b32_e32 v38, v30
.LBB9_2:                                ;   Parent Loop BB9_1 Depth=1
                                        ; =>  This Inner Loop Header: Depth=2
	v_add_u32_e32 v28, v34, v37
	v_ashrrev_i32_e32 v29, 31, v28
	v_lshlrev_b64 v[39:40], 2, v[28:29]
	v_add_u32_e32 v28, 8, v28
	v_ashrrev_i32_e32 v29, 31, v28
	s_add_u32 s4, s12, s18
	v_add_co_u32_e32 v39, vcc, s0, v39
	v_mov_b32_e32 v41, s1
	v_lshlrev_b64 v[28:29], 2, v[28:29]
	s_addc_u32 s5, s13, s19
	v_addc_co_u32_e32 v40, vcc, v41, v40, vcc
	s_add_u32 s6, s4, 0xffffff3c
	v_add_co_u32_e32 v28, vcc, s0, v28
	s_addc_u32 s7, s5, -1
	v_addc_co_u32_e32 v29, vcc, v41, v29, vcc
	s_load_dword s25, s[6:7], 0x0
	s_load_dword s3, s[4:5], 0x0
	global_load_dword v39, v[39:40], off
	s_add_u32 s28, s12, s16
	global_load_dword v40, v[28:29], off
	v_add_u32_e32 v28, v34, v38
	v_ashrrev_i32_e32 v29, 31, v28
	v_lshlrev_b64 v[42:43], 2, v[28:29]
	s_addc_u32 s29, s13, s17
	v_add_co_u32_e32 v42, vcc, s0, v42
	v_addc_co_u32_e32 v43, vcc, v41, v43, vcc
	global_load_dword v29, v[42:43], off
	s_nop 0
	global_load_dword v42, v[0:1], off
	s_load_dwordx4 s[4:7], s[28:29], 0x0
	s_load_dwordx2 s[20:21], s[28:29], 0x10
	s_load_dword s26, s[28:29], 0x18
	s_add_u32 s18, s18, 4
	s_addc_u32 s19, s19, 0
	s_add_u32 s16, s16, 28
	s_addc_u32 s17, s17, 0
	v_add_u32_e32 v38, 0x70, v38
	v_add_u32_e32 v37, 16, v37
	s_cmpk_eq_i32 s16, 0xc4
	s_waitcnt vmcnt(0) lgkmcnt(0)
	v_fma_f32 v44, -s25, v29, v42
	v_add_u32_e32 v42, 8, v28
	v_ashrrev_i32_e32 v43, 31, v42
	v_lshlrev_b64 v[42:43], 2, v[42:43]
	v_fmac_f32_e32 v44, s4, v39
	v_add_co_u32_e32 v42, vcc, s0, v42
	v_addc_co_u32_e32 v43, vcc, v41, v43, vcc
	global_load_dword v42, v[42:43], off
	s_load_dword s27, s[28:29], 0xdc
	s_load_dwordx2 s[22:23], s[28:29], 0xd4
	s_load_dwordx4 s[8:11], s[28:29], 0xc4
	s_waitcnt vmcnt(0)
	v_fmac_f32_e32 v44, s3, v42
	s_waitcnt lgkmcnt(0)
	v_fma_f32 v43, -v40, s8, v44
	global_store_dword v[0:1], v43, off
	global_load_dword v43, v[2:3], off
	s_waitcnt vmcnt(0)
	v_fmac_f32_e32 v43, s25, v42
	v_fma_f32 v42, -v39, s8, v43
	v_fmac_f32_e32 v42, s3, v29
	v_fma_f32 v29, -v40, s4, v42
	v_add_u32_e32 v42, 16, v28
	v_ashrrev_i32_e32 v43, 31, v42
	v_lshlrev_b64 v[42:43], 2, v[42:43]
	global_store_dword v[2:3], v29, off
	v_add_co_u32_e32 v42, vcc, s0, v42
	v_addc_co_u32_e32 v43, vcc, v41, v43, vcc
	global_load_dword v29, v[42:43], off
	s_nop 0
	global_load_dword v42, v[4:5], off
	s_waitcnt vmcnt(0)
	v_fma_f32 v44, -s25, v29, v42
	v_add_u32_e32 v42, 24, v28
	v_ashrrev_i32_e32 v43, 31, v42
	v_lshlrev_b64 v[42:43], 2, v[42:43]
	v_fmac_f32_e32 v44, s5, v39
	v_add_co_u32_e32 v42, vcc, s0, v42
	v_addc_co_u32_e32 v43, vcc, v41, v43, vcc
	global_load_dword v42, v[42:43], off
	s_waitcnt vmcnt(0)
	v_fmac_f32_e32 v44, s3, v42
	v_fma_f32 v43, -v40, s9, v44
	global_store_dword v[4:5], v43, off
	global_load_dword v43, v[6:7], off
	s_waitcnt vmcnt(0)
	v_fmac_f32_e32 v43, s25, v42
	v_fma_f32 v42, -v39, s9, v43
	v_fmac_f32_e32 v42, s3, v29
	v_fma_f32 v29, -v40, s5, v42
	v_add_u32_e32 v42, 32, v28
	v_ashrrev_i32_e32 v43, 31, v42
	v_lshlrev_b64 v[42:43], 2, v[42:43]
	global_store_dword v[6:7], v29, off
	v_add_co_u32_e32 v42, vcc, s0, v42
	v_addc_co_u32_e32 v43, vcc, v41, v43, vcc
	global_load_dword v29, v[42:43], off
	s_nop 0
	global_load_dword v42, v[8:9], off
	s_waitcnt vmcnt(0)
	v_fma_f32 v44, -s25, v29, v42
	v_add_u32_e32 v42, 40, v28
	v_ashrrev_i32_e32 v43, 31, v42
	v_lshlrev_b64 v[42:43], 2, v[42:43]
	v_fmac_f32_e32 v44, s6, v39
	v_add_co_u32_e32 v42, vcc, s0, v42
	v_addc_co_u32_e32 v43, vcc, v41, v43, vcc
	global_load_dword v42, v[42:43], off
	s_waitcnt vmcnt(0)
	v_fmac_f32_e32 v44, s3, v42
	;; [unrolled: 28-line block ×5, first 2 shown]
	v_fma_f32 v43, -v40, s23, v44
	global_store_dword v[20:21], v43, off
	global_load_dword v43, v[22:23], off
	s_waitcnt vmcnt(0)
	v_fmac_f32_e32 v43, s25, v42
	v_fma_f32 v42, -v39, s23, v43
	v_fmac_f32_e32 v42, s3, v29
	v_fma_f32 v29, -v40, s21, v42
	v_add_u32_e32 v42, 0x60, v28
	v_ashrrev_i32_e32 v43, 31, v42
	v_lshlrev_b64 v[42:43], 2, v[42:43]
	global_store_dword v[22:23], v29, off
	v_add_co_u32_e32 v42, vcc, s0, v42
	v_addc_co_u32_e32 v43, vcc, v41, v43, vcc
	global_load_dword v29, v[42:43], off
	s_nop 0
	global_load_dword v42, v[24:25], off
	v_add_u32_e32 v43, 0x68, v28
	v_ashrrev_i32_e32 v44, 31, v43
	v_lshlrev_b64 v[43:44], 2, v[43:44]
	v_add_co_u32_e32 v43, vcc, s0, v43
	v_addc_co_u32_e32 v44, vcc, v41, v44, vcc
	global_load_dword v28, v[43:44], off
	s_waitcnt vmcnt(1)
	v_fma_f32 v42, -s25, v29, v42
	v_fmac_f32_e32 v42, s26, v39
	s_waitcnt vmcnt(0)
	v_fmac_f32_e32 v42, s3, v28
	v_fma_f32 v41, -v40, s27, v42
	global_store_dword v[24:25], v41, off
	global_load_dword v41, v[26:27], off
	s_waitcnt vmcnt(0)
	v_fmac_f32_e32 v41, s25, v28
	v_fma_f32 v28, -v39, s27, v41
	v_fmac_f32_e32 v28, s3, v29
	v_fma_f32 v28, -v40, s26, v28
	global_store_dword v[26:27], v28, off
	s_cbranch_scc0 .LBB9_2
; %bb.3:                                ;   in Loop: Header=BB9_1 Depth=1
	s_add_i32 s24, s24, 1
	s_add_u32 s14, s14, 28
	s_addc_u32 s15, s15, 0
	s_cmp_eq_u32 s24, 7
	v_add_u32_e32 v36, 0x70, v36
	s_cbranch_scc0 .LBB9_1
; %bb.4:
	s_endpgm
	.section	.rodata,"a",@progbits
	.p2align	6, 0x0
	.amdhsa_kernel _Z38comm_aosoa_naive_constants_direct_permPK15HIP_vector_typeIfLj2EEPS0_S2_
		.amdhsa_group_segment_fixed_size 0
		.amdhsa_private_segment_fixed_size 0
		.amdhsa_kernarg_size 280
		.amdhsa_user_sgpr_count 6
		.amdhsa_user_sgpr_private_segment_buffer 1
		.amdhsa_user_sgpr_dispatch_ptr 0
		.amdhsa_user_sgpr_queue_ptr 0
		.amdhsa_user_sgpr_kernarg_segment_ptr 1
		.amdhsa_user_sgpr_dispatch_id 0
		.amdhsa_user_sgpr_flat_scratch_init 0
		.amdhsa_user_sgpr_private_segment_size 0
		.amdhsa_uses_dynamic_stack 0
		.amdhsa_system_sgpr_private_segment_wavefront_offset 0
		.amdhsa_system_sgpr_workgroup_id_x 1
		.amdhsa_system_sgpr_workgroup_id_y 0
		.amdhsa_system_sgpr_workgroup_id_z 0
		.amdhsa_system_sgpr_workgroup_info 0
		.amdhsa_system_vgpr_workitem_id 0
		.amdhsa_next_free_vgpr 45
		.amdhsa_next_free_sgpr 30
		.amdhsa_reserve_vcc 1
		.amdhsa_reserve_flat_scratch 0
		.amdhsa_float_round_mode_32 0
		.amdhsa_float_round_mode_16_64 0
		.amdhsa_float_denorm_mode_32 3
		.amdhsa_float_denorm_mode_16_64 3
		.amdhsa_dx10_clamp 1
		.amdhsa_ieee_mode 1
		.amdhsa_fp16_overflow 0
		.amdhsa_exception_fp_ieee_invalid_op 0
		.amdhsa_exception_fp_denorm_src 0
		.amdhsa_exception_fp_ieee_div_zero 0
		.amdhsa_exception_fp_ieee_overflow 0
		.amdhsa_exception_fp_ieee_underflow 0
		.amdhsa_exception_fp_ieee_inexact 0
		.amdhsa_exception_int_div_zero 0
	.end_amdhsa_kernel
	.text
.Lfunc_end9:
	.size	_Z38comm_aosoa_naive_constants_direct_permPK15HIP_vector_typeIfLj2EEPS0_S2_, .Lfunc_end9-_Z38comm_aosoa_naive_constants_direct_permPK15HIP_vector_typeIfLj2EEPS0_S2_
                                        ; -- End function
	.set _Z38comm_aosoa_naive_constants_direct_permPK15HIP_vector_typeIfLj2EEPS0_S2_.num_vgpr, 45
	.set _Z38comm_aosoa_naive_constants_direct_permPK15HIP_vector_typeIfLj2EEPS0_S2_.num_agpr, 0
	.set _Z38comm_aosoa_naive_constants_direct_permPK15HIP_vector_typeIfLj2EEPS0_S2_.numbered_sgpr, 30
	.set _Z38comm_aosoa_naive_constants_direct_permPK15HIP_vector_typeIfLj2EEPS0_S2_.num_named_barrier, 0
	.set _Z38comm_aosoa_naive_constants_direct_permPK15HIP_vector_typeIfLj2EEPS0_S2_.private_seg_size, 0
	.set _Z38comm_aosoa_naive_constants_direct_permPK15HIP_vector_typeIfLj2EEPS0_S2_.uses_vcc, 1
	.set _Z38comm_aosoa_naive_constants_direct_permPK15HIP_vector_typeIfLj2EEPS0_S2_.uses_flat_scratch, 0
	.set _Z38comm_aosoa_naive_constants_direct_permPK15HIP_vector_typeIfLj2EEPS0_S2_.has_dyn_sized_stack, 0
	.set _Z38comm_aosoa_naive_constants_direct_permPK15HIP_vector_typeIfLj2EEPS0_S2_.has_recursion, 0
	.set _Z38comm_aosoa_naive_constants_direct_permPK15HIP_vector_typeIfLj2EEPS0_S2_.has_indirect_call, 0
	.section	.AMDGPU.csdata,"",@progbits
; Kernel info:
; codeLenInByte = 1884
; TotalNumSgprs: 34
; NumVgprs: 45
; ScratchSize: 0
; MemoryBound: 0
; FloatMode: 240
; IeeeMode: 1
; LDSByteSize: 0 bytes/workgroup (compile time only)
; SGPRBlocks: 4
; VGPRBlocks: 11
; NumSGPRsForWavesPerEU: 34
; NumVGPRsForWavesPerEU: 45
; Occupancy: 5
; WaveLimiterHint : 1
; COMPUTE_PGM_RSRC2:SCRATCH_EN: 0
; COMPUTE_PGM_RSRC2:USER_SGPR: 6
; COMPUTE_PGM_RSRC2:TRAP_HANDLER: 0
; COMPUTE_PGM_RSRC2:TGID_X_EN: 1
; COMPUTE_PGM_RSRC2:TGID_Y_EN: 0
; COMPUTE_PGM_RSRC2:TGID_Z_EN: 0
; COMPUTE_PGM_RSRC2:TIDIG_COMP_CNT: 0
	.text
	.protected	_Z10comm_aosoaPK15HIP_vector_typeIfLj2EEPS0_S2_i ; -- Begin function _Z10comm_aosoaPK15HIP_vector_typeIfLj2EEPS0_S2_i
	.globl	_Z10comm_aosoaPK15HIP_vector_typeIfLj2EEPS0_S2_i
	.p2align	8
	.type	_Z10comm_aosoaPK15HIP_vector_typeIfLj2EEPS0_S2_i,@function
_Z10comm_aosoaPK15HIP_vector_typeIfLj2EEPS0_S2_i: ; @_Z10comm_aosoaPK15HIP_vector_typeIfLj2EEPS0_S2_i
; %bb.0:
	s_load_dword s6, s[4:5], 0x18
	s_waitcnt lgkmcnt(0)
	s_cmp_lt_i32 s6, 1
	s_cbranch_scc1 .LBB10_7
; %bb.1:
	s_load_dwordx4 s[0:3], s[4:5], 0x0
	s_load_dwordx2 s[8:9], s[4:5], 0x10
	s_lshl_b32 s22, s6, 4
	s_mul_i32 s4, s22, s6
	v_lshl_add_u32 v1, s7, 6, v1
	v_mul_lo_u32 v3, v1, s4
	s_mov_b32 s5, 0
	s_mul_i32 s23, s6, s6
	s_mov_b32 s7, s5
	v_add_u32_e32 v4, 8, v0
	s_lshl_b64 s[10:11], s[6:7], 2
	v_mov_b32_e32 v2, 0
	s_waitcnt lgkmcnt(0)
	v_mov_b32_e32 v5, s1
	v_mov_b32_e32 v6, s3
	;; [unrolled: 1-line block ×3, first 2 shown]
	s_mov_b64 s[12:13], s[8:9]
	s_mov_b32 s1, s23
	s_mov_b32 s3, 0
.LBB10_2:                               ; =>This Loop Header: Depth=1
                                        ;     Child Loop BB10_3 Depth 2
                                        ;       Child Loop BB10_4 Depth 3
	s_mul_i32 s7, s3, s6
	v_mov_b32_e32 v8, v0
	s_mov_b64 s[14:15], s[8:9]
	s_mov_b32 s24, s23
	s_mov_b32 s25, s5
.LBB10_3:                               ;   Parent Loop BB10_2 Depth=1
                                        ; =>  This Loop Header: Depth=2
                                        ;       Child Loop BB10_4 Depth 3
	v_mov_b32_e32 v9, 0
	s_mov_b32 s26, 0
	v_mov_b32_e32 v11, v7
	s_mov_b64 s[16:17], s[12:13]
	v_mov_b32_e32 v12, v8
	s_mov_b64 s[18:19], s[14:15]
	s_mov_b32 s20, s24
	v_mov_b32_e32 v10, 0
.LBB10_4:                               ;   Parent Loop BB10_2 Depth=1
                                        ;     Parent Loop BB10_3 Depth=2
                                        ; =>    This Inner Loop Header: Depth=3
	v_add_u32_e32 v1, v3, v12
	v_lshlrev_b64 v[15:16], 2, v[1:2]
	v_add_u32_e32 v13, v3, v11
	v_mov_b32_e32 v14, v2
	v_add_u32_e32 v1, 8, v1
	v_lshlrev_b64 v[17:18], 2, v[13:14]
	v_lshlrev_b64 v[19:20], 2, v[1:2]
	v_add_u32_e32 v1, 8, v13
	v_add_co_u32_e32 v13, vcc, s0, v15
	v_addc_co_u32_e32 v14, vcc, v5, v16, vcc
	v_add_co_u32_e32 v15, vcc, s0, v17
	v_addc_co_u32_e32 v16, vcc, v5, v18, vcc
	v_lshlrev_b64 v[17:18], 2, v[1:2]
	global_load_dword v1, v[13:14], off
	global_load_dword v21, v[15:16], off
	v_add_co_u32_e32 v13, vcc, s0, v19
	v_addc_co_u32_e32 v14, vcc, v5, v20, vcc
	global_load_dword v15, v[13:14], off
	v_add_co_u32_e32 v13, vcc, s0, v17
	v_addc_co_u32_e32 v14, vcc, v5, v18, vcc
	global_load_dword v13, v[13:14], off
	s_add_i32 s4, s1, s26
	s_lshl_b64 s[28:29], s[4:5], 2
	s_add_u32 s28, s8, s28
	s_addc_u32 s29, s9, s29
	s_ashr_i32 s21, s20, 31
	s_load_dword s27, s[16:17], 0x0
	s_load_dword s30, s[18:19], 0x0
	;; [unrolled: 1-line block ×3, first 2 shown]
	s_lshl_b64 s[28:29], s[20:21], 2
	s_add_u32 s28, s8, s28
	s_addc_u32 s29, s9, s29
	s_load_dword s21, s[28:29], 0x0
	s_add_i32 s26, s26, 1
	s_add_i32 s20, s20, s6
	s_add_u32 s18, s18, s10
	s_addc_u32 s19, s19, s11
	s_add_u32 s16, s16, 4
	s_addc_u32 s17, s17, 0
	v_add_u32_e32 v12, s22, v12
	v_add_u32_e32 v11, 16, v11
	s_cmp_eq_u32 s6, s26
	s_waitcnt vmcnt(3) lgkmcnt(0)
	v_fma_f32 v9, -s27, v1, v9
	s_waitcnt vmcnt(2)
	v_fmac_f32_e32 v9, s30, v21
	s_waitcnt vmcnt(1)
	v_fmac_f32_e32 v10, s27, v15
	v_fma_f32 v10, -v21, s21, v10
	v_fmac_f32_e32 v9, s4, v15
	v_fmac_f32_e32 v10, s4, v1
	s_waitcnt vmcnt(0)
	v_fma_f32 v9, -v13, s21, v9
	v_fma_f32 v10, -s30, v13, v10
	s_cbranch_scc0 .LBB10_4
; %bb.5:                                ;   in Loop: Header=BB10_3 Depth=2
	s_add_i32 s4, s25, s7
	v_lshl_add_u32 v13, s4, 4, v3
	v_add_u32_e32 v1, v13, v0
	v_lshlrev_b64 v[11:12], 2, v[1:2]
	v_add_u32_e32 v1, v4, v13
	v_add_co_u32_e32 v11, vcc, s2, v11
	v_lshlrev_b64 v[13:14], 2, v[1:2]
	v_addc_co_u32_e32 v12, vcc, v6, v12, vcc
	v_add_co_u32_e32 v13, vcc, s2, v13
	v_addc_co_u32_e32 v14, vcc, v6, v14, vcc
	global_load_dword v15, v[11:12], off
	global_load_dword v1, v[13:14], off
	s_add_i32 s25, s25, 1
	s_add_i32 s24, s24, 1
	s_add_u32 s14, s14, 4
	s_addc_u32 s15, s15, 0
	s_cmp_eq_u32 s25, s6
	v_add_u32_e32 v8, 16, v8
	s_waitcnt vmcnt(1)
	v_add_f32_e32 v10, v10, v15
	s_waitcnt vmcnt(0)
	v_add_f32_e32 v1, v9, v1
	global_store_dword v[11:12], v10, off
	global_store_dword v[13:14], v1, off
	s_cbranch_scc0 .LBB10_3
; %bb.6:                                ;   in Loop: Header=BB10_2 Depth=1
	s_add_i32 s3, s3, 1
	s_add_i32 s1, s1, s6
	s_add_u32 s12, s12, s10
	s_addc_u32 s13, s13, s11
	s_cmp_eq_u32 s3, s6
	v_add_u32_e32 v7, s22, v7
	s_cbranch_scc0 .LBB10_2
.LBB10_7:
	s_endpgm
	.section	.rodata,"a",@progbits
	.p2align	6, 0x0
	.amdhsa_kernel _Z10comm_aosoaPK15HIP_vector_typeIfLj2EEPS0_S2_i
		.amdhsa_group_segment_fixed_size 0
		.amdhsa_private_segment_fixed_size 0
		.amdhsa_kernarg_size 28
		.amdhsa_user_sgpr_count 6
		.amdhsa_user_sgpr_private_segment_buffer 1
		.amdhsa_user_sgpr_dispatch_ptr 0
		.amdhsa_user_sgpr_queue_ptr 0
		.amdhsa_user_sgpr_kernarg_segment_ptr 1
		.amdhsa_user_sgpr_dispatch_id 0
		.amdhsa_user_sgpr_flat_scratch_init 0
		.amdhsa_user_sgpr_private_segment_size 0
		.amdhsa_uses_dynamic_stack 0
		.amdhsa_system_sgpr_private_segment_wavefront_offset 0
		.amdhsa_system_sgpr_workgroup_id_x 1
		.amdhsa_system_sgpr_workgroup_id_y 1
		.amdhsa_system_sgpr_workgroup_id_z 0
		.amdhsa_system_sgpr_workgroup_info 0
		.amdhsa_system_vgpr_workitem_id 1
		.amdhsa_next_free_vgpr 22
		.amdhsa_next_free_sgpr 31
		.amdhsa_reserve_vcc 1
		.amdhsa_reserve_flat_scratch 0
		.amdhsa_float_round_mode_32 0
		.amdhsa_float_round_mode_16_64 0
		.amdhsa_float_denorm_mode_32 3
		.amdhsa_float_denorm_mode_16_64 3
		.amdhsa_dx10_clamp 1
		.amdhsa_ieee_mode 1
		.amdhsa_fp16_overflow 0
		.amdhsa_exception_fp_ieee_invalid_op 0
		.amdhsa_exception_fp_denorm_src 0
		.amdhsa_exception_fp_ieee_div_zero 0
		.amdhsa_exception_fp_ieee_overflow 0
		.amdhsa_exception_fp_ieee_underflow 0
		.amdhsa_exception_fp_ieee_inexact 0
		.amdhsa_exception_int_div_zero 0
	.end_amdhsa_kernel
	.text
.Lfunc_end10:
	.size	_Z10comm_aosoaPK15HIP_vector_typeIfLj2EEPS0_S2_i, .Lfunc_end10-_Z10comm_aosoaPK15HIP_vector_typeIfLj2EEPS0_S2_i
                                        ; -- End function
	.set _Z10comm_aosoaPK15HIP_vector_typeIfLj2EEPS0_S2_i.num_vgpr, 22
	.set _Z10comm_aosoaPK15HIP_vector_typeIfLj2EEPS0_S2_i.num_agpr, 0
	.set _Z10comm_aosoaPK15HIP_vector_typeIfLj2EEPS0_S2_i.numbered_sgpr, 31
	.set _Z10comm_aosoaPK15HIP_vector_typeIfLj2EEPS0_S2_i.num_named_barrier, 0
	.set _Z10comm_aosoaPK15HIP_vector_typeIfLj2EEPS0_S2_i.private_seg_size, 0
	.set _Z10comm_aosoaPK15HIP_vector_typeIfLj2EEPS0_S2_i.uses_vcc, 1
	.set _Z10comm_aosoaPK15HIP_vector_typeIfLj2EEPS0_S2_i.uses_flat_scratch, 0
	.set _Z10comm_aosoaPK15HIP_vector_typeIfLj2EEPS0_S2_i.has_dyn_sized_stack, 0
	.set _Z10comm_aosoaPK15HIP_vector_typeIfLj2EEPS0_S2_i.has_recursion, 0
	.set _Z10comm_aosoaPK15HIP_vector_typeIfLj2EEPS0_S2_i.has_indirect_call, 0
	.section	.AMDGPU.csdata,"",@progbits
; Kernel info:
; codeLenInByte = 608
; TotalNumSgprs: 35
; NumVgprs: 22
; ScratchSize: 0
; MemoryBound: 0
; FloatMode: 240
; IeeeMode: 1
; LDSByteSize: 0 bytes/workgroup (compile time only)
; SGPRBlocks: 4
; VGPRBlocks: 5
; NumSGPRsForWavesPerEU: 35
; NumVGPRsForWavesPerEU: 22
; Occupancy: 10
; WaveLimiterHint : 0
; COMPUTE_PGM_RSRC2:SCRATCH_EN: 0
; COMPUTE_PGM_RSRC2:USER_SGPR: 6
; COMPUTE_PGM_RSRC2:TRAP_HANDLER: 0
; COMPUTE_PGM_RSRC2:TGID_X_EN: 1
; COMPUTE_PGM_RSRC2:TGID_Y_EN: 1
; COMPUTE_PGM_RSRC2:TGID_Z_EN: 0
; COMPUTE_PGM_RSRC2:TIDIG_COMP_CNT: 1
	.text
	.protected	_Z20comm_aosoa_constantsPK15HIP_vector_typeIfLj2EEPS0_S2_ ; -- Begin function _Z20comm_aosoa_constantsPK15HIP_vector_typeIfLj2EEPS0_S2_
	.globl	_Z20comm_aosoa_constantsPK15HIP_vector_typeIfLj2EEPS0_S2_
	.p2align	8
	.type	_Z20comm_aosoa_constantsPK15HIP_vector_typeIfLj2EEPS0_S2_,@function
_Z20comm_aosoa_constantsPK15HIP_vector_typeIfLj2EEPS0_S2_: ; @_Z20comm_aosoa_constantsPK15HIP_vector_typeIfLj2EEPS0_S2_
; %bb.0:
	s_load_dwordx4 s[0:3], s[4:5], 0x0
	s_load_dwordx2 s[12:13], s[4:5], 0x10
	v_lshl_add_u32 v2, s7, 6, v1
	s_movk_i32 s4, 0x310
	v_mul_lo_u32 v5, v2, s4
	s_mul_i32 s7, s7, 0xc400
	v_or_b32_e32 v2, s7, v0
	v_mad_u32_u24 v7, v1, s4, v2
	s_waitcnt lgkmcnt(0)
	s_add_u32 s14, s12, 0x16c
	v_add_u32_e32 v6, 8, v0
	s_addc_u32 s15, s13, 0
	s_mov_b32 s17, 0
	v_mov_b32_e32 v2, 0
	v_mov_b32_e32 v8, s1
	;; [unrolled: 1-line block ×3, first 2 shown]
	s_mov_b32 s24, 0
.LBB11_1:                               ; =>This Loop Header: Depth=1
                                        ;     Child Loop BB11_2 Depth 2
	s_mul_i32 s16, s24, 7
	s_lshl_b64 s[4:5], s[16:17], 2
	s_add_u32 s22, s12, s4
	s_mul_i32 s4, s24, 0x70
	v_add_u32_e32 v10, s4, v5
	v_add_u32_e32 v1, v10, v0
	v_lshlrev_b64 v[3:4], 2, v[1:2]
	v_add_u32_e32 v1, v6, v10
	s_addc_u32 s23, s13, s5
	v_add_co_u32_e32 v3, vcc, s0, v3
	v_lshlrev_b64 v[10:11], 2, v[1:2]
	s_lshl_b32 s4, s16, 4
	v_addc_co_u32_e32 v4, vcc, v8, v4, vcc
	v_add3_u32 v12, s4, 16, v5
	v_add_co_u32_e32 v18, vcc, s0, v10
	v_add_u32_e32 v1, v12, v0
	v_addc_co_u32_e32 v19, vcc, v8, v11, vcc
	v_lshlrev_b64 v[10:11], 2, v[1:2]
	v_add_u32_e32 v1, v6, v12
	v_add_co_u32_e32 v20, vcc, s0, v10
	v_addc_co_u32_e32 v21, vcc, v8, v11, vcc
	v_lshlrev_b64 v[10:11], 2, v[1:2]
	v_add3_u32 v12, s4, 32, v5
	v_add_co_u32_e32 v22, vcc, s0, v10
	v_add_u32_e32 v1, v12, v0
	v_addc_co_u32_e32 v23, vcc, v8, v11, vcc
	v_lshlrev_b64 v[10:11], 2, v[1:2]
	v_add_u32_e32 v1, v6, v12
	v_add_co_u32_e32 v24, vcc, s0, v10
	v_addc_co_u32_e32 v25, vcc, v8, v11, vcc
	v_lshlrev_b64 v[10:11], 2, v[1:2]
	;; [unrolled: 9-line block ×3, first 2 shown]
	s_add_i32 s5, s4, 0x50
	v_add_co_u32_e32 v30, vcc, s0, v10
	v_addc_co_u32_e32 v31, vcc, v8, v11, vcc
	global_load_dword v10, v[3:4], off
	global_load_dword v11, v[18:19], off
	;; [unrolled: 1-line block ×8, first 2 shown]
	v_add3_u32 v18, s4, 64, v5
	v_add_u32_e32 v1, v18, v0
	v_lshlrev_b64 v[3:4], 2, v[1:2]
	v_add_u32_e32 v1, v6, v18
	v_add_co_u32_e32 v3, vcc, s0, v3
	v_lshlrev_b64 v[18:19], 2, v[1:2]
	v_addc_co_u32_e32 v4, vcc, v8, v4, vcc
	v_add_u32_e32 v20, s5, v5
	v_add_co_u32_e32 v23, vcc, s0, v18
	v_add_u32_e32 v1, v20, v0
	v_addc_co_u32_e32 v24, vcc, v8, v19, vcc
	v_lshlrev_b64 v[18:19], 2, v[1:2]
	v_add_u32_e32 v1, v6, v20
	v_add_co_u32_e32 v25, vcc, s0, v18
	v_addc_co_u32_e32 v26, vcc, v8, v19, vcc
	v_lshlrev_b64 v[18:19], 2, v[1:2]
	s_addk_i32 s4, 0x60
	v_add_u32_e32 v20, s4, v5
	v_add_co_u32_e32 v27, vcc, s0, v18
	v_add_u32_e32 v1, v20, v0
	v_addc_co_u32_e32 v28, vcc, v8, v19, vcc
	v_lshlrev_b64 v[18:19], 2, v[1:2]
	v_add_u32_e32 v1, v6, v20
	v_add_co_u32_e32 v29, vcc, s0, v18
	v_addc_co_u32_e32 v30, vcc, v8, v19, vcc
	v_lshlrev_b64 v[18:19], 2, v[1:2]
	s_mov_b32 s26, 0
	v_add_co_u32_e32 v31, vcc, s0, v18
	v_addc_co_u32_e32 v32, vcc, v8, v19, vcc
	global_load_dword v18, v[3:4], off
	global_load_dword v19, v[23:24], off
	;; [unrolled: 1-line block ×5, first 2 shown]
                                        ; kill: killed $vgpr25 killed $vgpr26
                                        ; kill: killed $vgpr27 killed $vgpr28
                                        ; kill: killed $vgpr29 killed $vgpr30
                                        ; kill: killed $vgpr3 killed $vgpr4
                                        ; kill: killed $vgpr23 killed $vgpr24
	s_nop 0
	global_load_dword v23, v[31:32], off
	s_load_dwordx4 s[4:7], s[22:23], 0x0
	s_load_dwordx2 s[18:19], s[22:23], 0x10
	s_load_dword s16, s[22:23], 0x18
	s_load_dwordx4 s[8:11], s[22:23], 0xc4
	s_load_dwordx2 s[20:21], s[22:23], 0xd4
	s_load_dword s25, s[22:23], 0xdc
	s_mov_b64 s[22:23], s[14:15]
.LBB11_2:                               ;   Parent Loop BB11_1 Depth=1
                                        ; =>  This Inner Loop Header: Depth=2
	v_add_u32_e32 v1, s26, v7
	v_lshlrev_b64 v[3:4], 2, v[1:2]
	s_add_u32 s28, s22, 0xfffffe94
	v_add_co_u32_e32 v24, vcc, s0, v3
	v_mov_b32_e32 v3, s1
	v_addc_co_u32_e32 v25, vcc, v3, v4, vcc
	global_load_dword v4, v[24:25], off
	v_add_u32_e32 v24, 8, v1
	v_mov_b32_e32 v25, v2
	v_lshlrev_b64 v[24:25], 2, v[24:25]
	s_addc_u32 s29, s23, -1
	v_add_co_u32_e32 v24, vcc, s0, v24
	v_addc_co_u32_e32 v25, vcc, v3, v25, vcc
	global_load_dword v24, v[24:25], off
	s_load_dword s27, s[28:29], 0x0
	s_add_u32 s28, s22, 0xffffff58
	s_addc_u32 s29, s23, -1
	s_load_dword s28, s[28:29], 0x0
	v_mov_b32_e32 v25, v2
	s_waitcnt vmcnt(1) lgkmcnt(0)
	v_fma_f32 v26, -s4, v4, 0
	v_fmac_f32_e32 v26, s27, v10
	s_waitcnt vmcnt(0)
	v_fmac_f32_e32 v26, s8, v24
	v_fma_f32 v24, s4, v24, 0
	v_fma_f32 v24, -v10, s28, v24
	v_fmac_f32_e32 v24, s8, v4
	v_fma_f32 v4, -s27, v11, v24
	v_add_u32_e32 v24, 0x70, v1
	v_lshlrev_b64 v[24:25], 2, v[24:25]
	v_fma_f32 v26, -v11, s28, v26
	v_add_co_u32_e32 v24, vcc, s0, v24
	v_addc_co_u32_e32 v25, vcc, v3, v25, vcc
	global_load_dword v27, v[24:25], off
	v_add_u32_e32 v24, 0x78, v1
	v_mov_b32_e32 v25, v2
	v_lshlrev_b64 v[24:25], 2, v[24:25]
	s_add_u32 s28, s22, 0xfffffeb0
	v_add_co_u32_e32 v24, vcc, s0, v24
	v_addc_co_u32_e32 v25, vcc, v3, v25, vcc
	global_load_dword v24, v[24:25], off
	s_addc_u32 s29, s23, -1
	s_load_dword s27, s[28:29], 0x0
	s_add_u32 s28, s22, 0xffffff74
	s_addc_u32 s29, s23, -1
	s_load_dword s28, s[28:29], 0x0
	v_mov_b32_e32 v25, v2
	s_waitcnt vmcnt(1)
	v_fma_f32 v26, -s5, v27, v26
	s_waitcnt lgkmcnt(0)
	v_fmac_f32_e32 v26, s27, v12
	s_waitcnt vmcnt(0)
	v_fmac_f32_e32 v26, s9, v24
	v_fmac_f32_e32 v4, s5, v24
	v_add_u32_e32 v24, 0xe0, v1
	v_lshlrev_b64 v[24:25], 2, v[24:25]
	v_fma_f32 v4, -v12, s28, v4
	v_add_co_u32_e32 v24, vcc, s0, v24
	v_addc_co_u32_e32 v25, vcc, v3, v25, vcc
	v_fmac_f32_e32 v4, s9, v27
	global_load_dword v27, v[24:25], off
	v_add_u32_e32 v24, 0xe8, v1
	v_mov_b32_e32 v25, v2
	v_lshlrev_b64 v[24:25], 2, v[24:25]
	v_fma_f32 v26, -v13, s28, v26
	v_add_co_u32_e32 v24, vcc, s0, v24
	v_addc_co_u32_e32 v25, vcc, v3, v25, vcc
	global_load_dword v24, v[24:25], off
	s_add_u32 s28, s22, 0xfffffecc
	s_addc_u32 s29, s23, -1
	v_fma_f32 v4, -s27, v13, v4
	s_load_dword s27, s[28:29], 0x0
	s_add_u32 s28, s22, 0xffffff90
	s_addc_u32 s29, s23, -1
	s_load_dword s28, s[28:29], 0x0
	v_mov_b32_e32 v25, v2
	s_waitcnt vmcnt(1)
	v_fma_f32 v26, -s6, v27, v26
	s_waitcnt lgkmcnt(0)
	v_fmac_f32_e32 v26, s27, v14
	s_waitcnt vmcnt(0)
	v_fmac_f32_e32 v26, s10, v24
	v_fmac_f32_e32 v4, s6, v24
	v_add_u32_e32 v24, 0x150, v1
	v_lshlrev_b64 v[24:25], 2, v[24:25]
	v_fma_f32 v4, -v14, s28, v4
	v_add_co_u32_e32 v24, vcc, s0, v24
	v_addc_co_u32_e32 v25, vcc, v3, v25, vcc
	v_fmac_f32_e32 v4, s10, v27
	global_load_dword v27, v[24:25], off
	v_add_u32_e32 v24, 0x158, v1
	v_mov_b32_e32 v25, v2
	v_lshlrev_b64 v[24:25], 2, v[24:25]
	v_fma_f32 v26, -v15, s28, v26
	v_add_co_u32_e32 v24, vcc, s0, v24
	v_addc_co_u32_e32 v25, vcc, v3, v25, vcc
	global_load_dword v24, v[24:25], off
	s_add_u32 s28, s22, 0xfffffee8
	s_addc_u32 s29, s23, -1
	v_fma_f32 v4, -s27, v15, v4
	;; [unrolled: 29-line block ×4, first 2 shown]
	s_load_dword s27, s[28:29], 0x0
	s_add_u32 s28, s22, 0xffffffe4
	s_addc_u32 s29, s23, -1
	s_load_dword s28, s[28:29], 0x0
	v_mov_b32_e32 v25, v2
	s_waitcnt vmcnt(1)
	v_fma_f32 v26, -s19, v27, v26
	s_waitcnt lgkmcnt(0)
	v_fmac_f32_e32 v26, s27, v20
	s_waitcnt vmcnt(0)
	v_fmac_f32_e32 v26, s21, v24
	v_fmac_f32_e32 v4, s19, v24
	v_add_u32_e32 v24, 0x2a0, v1
	v_lshlrev_b64 v[24:25], 2, v[24:25]
	v_fma_f32 v4, -v20, s28, v4
	v_add_co_u32_e32 v24, vcc, s0, v24
	v_addc_co_u32_e32 v25, vcc, v3, v25, vcc
	v_add_u32_e32 v1, 0x2a8, v1
	v_fmac_f32_e32 v4, s21, v27
	global_load_dword v27, v[24:25], off
	v_lshlrev_b64 v[24:25], 2, v[1:2]
	v_fma_f32 v26, -v21, s28, v26
	v_add_co_u32_e32 v24, vcc, s0, v24
	v_addc_co_u32_e32 v25, vcc, v3, v25, vcc
	global_load_dword v1, v[24:25], off
	s_add_u32 s28, s22, 0xffffff3c
	s_addc_u32 s29, s23, -1
	v_fma_f32 v4, -s27, v21, v4
	s_load_dword s27, s[28:29], 0x0
	s_waitcnt vmcnt(1)
	v_fma_f32 v26, -s16, v27, v26
	s_load_dword s28, s[22:23], 0x0
	s_waitcnt lgkmcnt(0)
	v_fmac_f32_e32 v26, s27, v22
	s_waitcnt vmcnt(0)
	v_fmac_f32_e32 v4, s16, v1
	v_fmac_f32_e32 v26, s25, v1
	v_fma_f32 v1, -v22, s28, v4
	v_fmac_f32_e32 v1, s25, v27
	v_fma_f32 v25, -s27, v23, v1
	v_add_u32_e32 v1, s26, v9
	v_lshlrev_b64 v[3:4], 2, v[1:2]
	v_fma_f32 v24, -v23, s28, v26
	v_add_co_u32_e32 v3, vcc, s2, v3
	v_mov_b32_e32 v26, s3
	v_addc_co_u32_e32 v4, vcc, v26, v4, vcc
	global_load_dword v27, v[3:4], off
	v_add_u32_e32 v1, 8, v1
	s_add_i32 s26, s26, 16
	s_add_u32 s22, s22, 4
	s_addc_u32 s23, s23, 0
	s_cmpk_lg_i32 s26, 0x70
	s_waitcnt vmcnt(0)
	v_add_f32_e32 v25, v25, v27
	global_store_dword v[3:4], v25, off
	v_lshlrev_b64 v[3:4], 2, v[1:2]
	v_add_co_u32_e32 v3, vcc, s2, v3
	v_addc_co_u32_e32 v4, vcc, v26, v4, vcc
	global_load_dword v1, v[3:4], off
	s_waitcnt vmcnt(0)
	v_add_f32_e32 v1, v24, v1
	global_store_dword v[3:4], v1, off
	s_cbranch_scc1 .LBB11_2
; %bb.3:                                ;   in Loop: Header=BB11_1 Depth=1
	s_add_i32 s24, s24, 1
	s_cmp_eq_u32 s24, 7
	v_add_u32_e32 v9, 0x70, v9
	s_cbranch_scc0 .LBB11_1
; %bb.4:
	s_endpgm
	.section	.rodata,"a",@progbits
	.p2align	6, 0x0
	.amdhsa_kernel _Z20comm_aosoa_constantsPK15HIP_vector_typeIfLj2EEPS0_S2_
		.amdhsa_group_segment_fixed_size 0
		.amdhsa_private_segment_fixed_size 0
		.amdhsa_kernarg_size 24
		.amdhsa_user_sgpr_count 6
		.amdhsa_user_sgpr_private_segment_buffer 1
		.amdhsa_user_sgpr_dispatch_ptr 0
		.amdhsa_user_sgpr_queue_ptr 0
		.amdhsa_user_sgpr_kernarg_segment_ptr 1
		.amdhsa_user_sgpr_dispatch_id 0
		.amdhsa_user_sgpr_flat_scratch_init 0
		.amdhsa_user_sgpr_private_segment_size 0
		.amdhsa_uses_dynamic_stack 0
		.amdhsa_system_sgpr_private_segment_wavefront_offset 0
		.amdhsa_system_sgpr_workgroup_id_x 1
		.amdhsa_system_sgpr_workgroup_id_y 1
		.amdhsa_system_sgpr_workgroup_id_z 0
		.amdhsa_system_sgpr_workgroup_info 0
		.amdhsa_system_vgpr_workitem_id 1
		.amdhsa_next_free_vgpr 33
		.amdhsa_next_free_sgpr 30
		.amdhsa_reserve_vcc 1
		.amdhsa_reserve_flat_scratch 0
		.amdhsa_float_round_mode_32 0
		.amdhsa_float_round_mode_16_64 0
		.amdhsa_float_denorm_mode_32 3
		.amdhsa_float_denorm_mode_16_64 3
		.amdhsa_dx10_clamp 1
		.amdhsa_ieee_mode 1
		.amdhsa_fp16_overflow 0
		.amdhsa_exception_fp_ieee_invalid_op 0
		.amdhsa_exception_fp_denorm_src 0
		.amdhsa_exception_fp_ieee_div_zero 0
		.amdhsa_exception_fp_ieee_overflow 0
		.amdhsa_exception_fp_ieee_underflow 0
		.amdhsa_exception_fp_ieee_inexact 0
		.amdhsa_exception_int_div_zero 0
	.end_amdhsa_kernel
	.text
.Lfunc_end11:
	.size	_Z20comm_aosoa_constantsPK15HIP_vector_typeIfLj2EEPS0_S2_, .Lfunc_end11-_Z20comm_aosoa_constantsPK15HIP_vector_typeIfLj2EEPS0_S2_
                                        ; -- End function
	.set _Z20comm_aosoa_constantsPK15HIP_vector_typeIfLj2EEPS0_S2_.num_vgpr, 33
	.set _Z20comm_aosoa_constantsPK15HIP_vector_typeIfLj2EEPS0_S2_.num_agpr, 0
	.set _Z20comm_aosoa_constantsPK15HIP_vector_typeIfLj2EEPS0_S2_.numbered_sgpr, 30
	.set _Z20comm_aosoa_constantsPK15HIP_vector_typeIfLj2EEPS0_S2_.num_named_barrier, 0
	.set _Z20comm_aosoa_constantsPK15HIP_vector_typeIfLj2EEPS0_S2_.private_seg_size, 0
	.set _Z20comm_aosoa_constantsPK15HIP_vector_typeIfLj2EEPS0_S2_.uses_vcc, 1
	.set _Z20comm_aosoa_constantsPK15HIP_vector_typeIfLj2EEPS0_S2_.uses_flat_scratch, 0
	.set _Z20comm_aosoa_constantsPK15HIP_vector_typeIfLj2EEPS0_S2_.has_dyn_sized_stack, 0
	.set _Z20comm_aosoa_constantsPK15HIP_vector_typeIfLj2EEPS0_S2_.has_recursion, 0
	.set _Z20comm_aosoa_constantsPK15HIP_vector_typeIfLj2EEPS0_S2_.has_indirect_call, 0
	.section	.AMDGPU.csdata,"",@progbits
; Kernel info:
; codeLenInByte = 1948
; TotalNumSgprs: 34
; NumVgprs: 33
; ScratchSize: 0
; MemoryBound: 0
; FloatMode: 240
; IeeeMode: 1
; LDSByteSize: 0 bytes/workgroup (compile time only)
; SGPRBlocks: 4
; VGPRBlocks: 8
; NumSGPRsForWavesPerEU: 34
; NumVGPRsForWavesPerEU: 33
; Occupancy: 7
; WaveLimiterHint : 0
; COMPUTE_PGM_RSRC2:SCRATCH_EN: 0
; COMPUTE_PGM_RSRC2:USER_SGPR: 6
; COMPUTE_PGM_RSRC2:TRAP_HANDLER: 0
; COMPUTE_PGM_RSRC2:TGID_X_EN: 1
; COMPUTE_PGM_RSRC2:TGID_Y_EN: 1
; COMPUTE_PGM_RSRC2:TGID_Z_EN: 0
; COMPUTE_PGM_RSRC2:TIDIG_COMP_CNT: 1
	.text
	.protected	_Z25comm_aosoa_constants_permPK15HIP_vector_typeIfLj2EEPS0_S2_ ; -- Begin function _Z25comm_aosoa_constants_permPK15HIP_vector_typeIfLj2EEPS0_S2_
	.globl	_Z25comm_aosoa_constants_permPK15HIP_vector_typeIfLj2EEPS0_S2_
	.p2align	8
	.type	_Z25comm_aosoa_constants_permPK15HIP_vector_typeIfLj2EEPS0_S2_,@function
_Z25comm_aosoa_constants_permPK15HIP_vector_typeIfLj2EEPS0_S2_: ; @_Z25comm_aosoa_constants_permPK15HIP_vector_typeIfLj2EEPS0_S2_
; %bb.0:
	s_load_dwordx4 s[0:3], s[4:5], 0x0
	s_load_dwordx2 s[12:13], s[4:5], 0x10
	v_lshl_add_u32 v2, s7, 6, v1
	s_movk_i32 s4, 0x310
	v_mul_lo_u32 v31, v2, s4
	s_mul_i32 s7, s7, 0xc400
	v_or_b32_e32 v34, s7, v0
	v_add_u32_e32 v32, 8, v0
	v_mul_u32_u24_e32 v33, 0x310, v1
	s_mov_b32 s24, 0
	s_mov_b64 s[14:15], 0xc4
	v_mov_b32_e32 v2, 0
	s_waitcnt lgkmcnt(0)
	v_mov_b32_e32 v35, s3
	v_mov_b32_e32 v36, v34
.LBB12_1:                               ; =>This Loop Header: Depth=1
                                        ;     Child Loop BB12_2 Depth 2
	s_mul_i32 s3, s24, 0x70
	v_add_u32_e32 v27, s3, v31
	v_add_u32_e32 v1, v27, v0
	v_lshlrev_b64 v[3:4], 2, v[1:2]
	v_add_u32_e32 v1, v32, v27
	v_add_co_u32_e32 v3, vcc, s2, v3
	v_lshlrev_b64 v[5:6], 2, v[1:2]
	v_add_u32_e32 v9, 16, v27
	v_addc_co_u32_e32 v4, vcc, v35, v4, vcc
	v_add_u32_e32 v1, v9, v0
	v_add_co_u32_e32 v5, vcc, s2, v5
	v_lshlrev_b64 v[7:8], 2, v[1:2]
	v_addc_co_u32_e32 v6, vcc, v35, v6, vcc
	v_add_u32_e32 v1, v32, v9
	v_add_co_u32_e32 v7, vcc, s2, v7
	v_lshlrev_b64 v[9:10], 2, v[1:2]
	v_add_u32_e32 v13, 32, v27
	v_addc_co_u32_e32 v8, vcc, v35, v8, vcc
	v_add_u32_e32 v1, v13, v0
	v_add_co_u32_e32 v9, vcc, s2, v9
	v_lshlrev_b64 v[11:12], 2, v[1:2]
	v_addc_co_u32_e32 v10, vcc, v35, v10, vcc
	;; [unrolled: 9-line block ×6, first 2 shown]
	v_add_u32_e32 v1, v32, v29
	v_add_co_u32_e32 v27, vcc, s2, v27
	v_lshlrev_b64 v[29:30], 2, v[1:2]
	v_addc_co_u32_e32 v28, vcc, v35, v28, vcc
	v_add_co_u32_e32 v29, vcc, s2, v29
	v_addc_co_u32_e32 v30, vcc, v35, v30, vcc
	s_mov_b64 s[16:17], 0
	s_mov_b64 s[18:19], s[14:15]
	v_mov_b32_e32 v37, v36
	v_mov_b32_e32 v38, v34
.LBB12_2:                               ;   Parent Loop BB12_1 Depth=1
                                        ; =>  This Inner Loop Header: Depth=2
	v_add_u32_e32 v1, v33, v37
	v_lshlrev_b64 v[39:40], 2, v[1:2]
	v_add_u32_e32 v1, 8, v1
	s_add_u32 s4, s12, s18
	v_add_co_u32_e32 v39, vcc, s0, v39
	v_mov_b32_e32 v41, s1
	v_lshlrev_b64 v[42:43], 2, v[1:2]
	s_addc_u32 s5, s13, s19
	v_addc_co_u32_e32 v40, vcc, v41, v40, vcc
	s_add_u32 s6, s4, 0xffffff3c
	v_add_co_u32_e32 v42, vcc, s0, v42
	s_addc_u32 s7, s5, -1
	v_addc_co_u32_e32 v43, vcc, v41, v43, vcc
	v_add_u32_e32 v1, v33, v38
	s_load_dword s25, s[6:7], 0x0
	s_load_dword s3, s[4:5], 0x0
	global_load_dword v39, v[39:40], off
	s_nop 0
	global_load_dword v40, v[42:43], off
	global_load_dword v44, v[3:4], off
	;; [unrolled: 1-line block ×3, first 2 shown]
	v_lshlrev_b64 v[42:43], 2, v[1:2]
	s_add_u32 s28, s12, s16
	v_add_co_u32_e32 v42, vcc, s0, v42
	v_addc_co_u32_e32 v43, vcc, v41, v43, vcc
	global_load_dword v46, v[42:43], off
	v_add_u32_e32 v42, 8, v1
	v_mov_b32_e32 v43, v2
	v_lshlrev_b64 v[42:43], 2, v[42:43]
	s_addc_u32 s29, s13, s17
	v_add_co_u32_e32 v42, vcc, s0, v42
	v_addc_co_u32_e32 v43, vcc, v41, v43, vcc
	s_load_dwordx4 s[4:7], s[28:29], 0x0
	s_load_dwordx2 s[20:21], s[28:29], 0x10
	s_load_dword s26, s[28:29], 0x18
	global_load_dword v42, v[42:43], off
	s_load_dword s27, s[28:29], 0xdc
	s_load_dwordx2 s[22:23], s[28:29], 0xd4
	s_load_dwordx4 s[8:11], s[28:29], 0xc4
	s_add_u32 s18, s18, 4
	s_addc_u32 s19, s19, 0
	s_add_u32 s16, s16, 28
	s_addc_u32 s17, s17, 0
	v_add_u32_e32 v38, 0x70, v38
	v_add_u32_e32 v37, 16, v37
	s_cmpk_eq_i32 s16, 0xc4
	s_waitcnt vmcnt(1) lgkmcnt(0)
	v_fma_f32 v45, -s25, v46, v45
	v_fmac_f32_e32 v45, s4, v39
	s_waitcnt vmcnt(0)
	v_fmac_f32_e32 v44, s25, v42
	v_fmac_f32_e32 v45, s3, v42
	v_fma_f32 v42, -v39, s8, v44
	v_fmac_f32_e32 v42, s3, v46
	v_fma_f32 v43, -v40, s8, v45
	v_fma_f32 v42, -v40, s4, v42
	global_store_dword v[3:4], v42, off
	global_store_dword v[5:6], v43, off
	v_add_u32_e32 v42, 16, v1
	v_mov_b32_e32 v43, v2
	v_lshlrev_b64 v[42:43], 2, v[42:43]
	global_load_dword v44, v[7:8], off
	global_load_dword v45, v[9:10], off
	v_add_co_u32_e32 v42, vcc, s0, v42
	v_addc_co_u32_e32 v43, vcc, v41, v43, vcc
	global_load_dword v46, v[42:43], off
	v_add_u32_e32 v42, 24, v1
	v_mov_b32_e32 v43, v2
	v_lshlrev_b64 v[42:43], 2, v[42:43]
	v_add_co_u32_e32 v42, vcc, s0, v42
	v_addc_co_u32_e32 v43, vcc, v41, v43, vcc
	global_load_dword v42, v[42:43], off
	s_waitcnt vmcnt(1)
	v_fma_f32 v45, -s25, v46, v45
	v_fmac_f32_e32 v45, s5, v39
	s_waitcnt vmcnt(0)
	v_fmac_f32_e32 v44, s25, v42
	v_fmac_f32_e32 v45, s3, v42
	v_fma_f32 v42, -v39, s9, v44
	v_fmac_f32_e32 v42, s3, v46
	v_fma_f32 v43, -v40, s9, v45
	v_fma_f32 v42, -v40, s5, v42
	global_store_dword v[7:8], v42, off
	global_store_dword v[9:10], v43, off
	v_add_u32_e32 v42, 32, v1
	v_mov_b32_e32 v43, v2
	v_lshlrev_b64 v[42:43], 2, v[42:43]
	global_load_dword v44, v[11:12], off
	global_load_dword v45, v[13:14], off
	v_add_co_u32_e32 v42, vcc, s0, v42
	v_addc_co_u32_e32 v43, vcc, v41, v43, vcc
	global_load_dword v46, v[42:43], off
	v_add_u32_e32 v42, 40, v1
	v_mov_b32_e32 v43, v2
	v_lshlrev_b64 v[42:43], 2, v[42:43]
	v_add_co_u32_e32 v42, vcc, s0, v42
	v_addc_co_u32_e32 v43, vcc, v41, v43, vcc
	global_load_dword v42, v[42:43], off
	s_waitcnt vmcnt(1)
	;; [unrolled: 26-line block ×4, first 2 shown]
	v_fma_f32 v45, -s25, v46, v45
	v_fmac_f32_e32 v45, s20, v39
	s_waitcnt vmcnt(0)
	v_fmac_f32_e32 v42, s25, v43
	v_fma_f32 v42, -v39, s22, v42
	v_fmac_f32_e32 v42, s3, v46
	v_fmac_f32_e32 v45, s3, v43
	v_fma_f32 v42, -v40, s20, v42
	v_fma_f32 v44, -v40, s22, v45
	global_store_dword v[19:20], v42, off
	global_store_dword v[21:22], v44, off
	v_add_u32_e32 v42, 0x50, v1
	v_mov_b32_e32 v43, v2
	v_lshlrev_b64 v[42:43], 2, v[42:43]
	global_load_dword v44, v[23:24], off
	global_load_dword v45, v[25:26], off
	v_add_co_u32_e32 v42, vcc, s0, v42
	v_addc_co_u32_e32 v43, vcc, v41, v43, vcc
	global_load_dword v46, v[42:43], off
	v_add_u32_e32 v42, 0x58, v1
	v_mov_b32_e32 v43, v2
	v_lshlrev_b64 v[42:43], 2, v[42:43]
	v_add_co_u32_e32 v42, vcc, s0, v42
	v_addc_co_u32_e32 v43, vcc, v41, v43, vcc
	global_load_dword v42, v[42:43], off
	s_waitcnt vmcnt(1)
	v_fma_f32 v45, -s25, v46, v45
	v_fmac_f32_e32 v45, s21, v39
	s_waitcnt vmcnt(0)
	v_fmac_f32_e32 v44, s25, v42
	v_fmac_f32_e32 v45, s3, v42
	v_fma_f32 v42, -v39, s23, v44
	v_fmac_f32_e32 v42, s3, v46
	v_fma_f32 v43, -v40, s23, v45
	v_fma_f32 v42, -v40, s21, v42
	global_store_dword v[23:24], v42, off
	global_store_dword v[25:26], v43, off
	v_add_u32_e32 v43, 0x60, v1
	v_mov_b32_e32 v44, v2
	v_lshlrev_b64 v[43:44], 2, v[43:44]
	v_add_u32_e32 v1, 0x68, v1
	v_add_co_u32_e32 v43, vcc, s0, v43
	v_addc_co_u32_e32 v44, vcc, v41, v44, vcc
	global_load_dword v42, v[27:28], off
	global_load_dword v45, v[29:30], off
	;; [unrolled: 1-line block ×3, first 2 shown]
	v_lshlrev_b64 v[43:44], 2, v[1:2]
	v_add_co_u32_e32 v43, vcc, s0, v43
	v_addc_co_u32_e32 v44, vcc, v41, v44, vcc
	global_load_dword v1, v[43:44], off
	s_waitcnt vmcnt(1)
	v_fma_f32 v45, -s25, v46, v45
	v_fmac_f32_e32 v45, s26, v39
	s_waitcnt vmcnt(0)
	v_fmac_f32_e32 v42, s25, v1
	v_fmac_f32_e32 v45, s3, v1
	v_fma_f32 v1, -v39, s27, v42
	v_fmac_f32_e32 v1, s3, v46
	v_fma_f32 v1, -v40, s26, v1
	v_fma_f32 v41, -v40, s27, v45
	global_store_dword v[27:28], v1, off
	global_store_dword v[29:30], v41, off
	s_cbranch_scc0 .LBB12_2
; %bb.3:                                ;   in Loop: Header=BB12_1 Depth=1
	s_add_i32 s24, s24, 1
	s_add_u32 s14, s14, 28
	s_addc_u32 s15, s15, 0
	s_cmp_eq_u32 s24, 7
	v_add_u32_e32 v36, 0x70, v36
	s_cbranch_scc0 .LBB12_1
; %bb.4:
	s_endpgm
	.section	.rodata,"a",@progbits
	.p2align	6, 0x0
	.amdhsa_kernel _Z25comm_aosoa_constants_permPK15HIP_vector_typeIfLj2EEPS0_S2_
		.amdhsa_group_segment_fixed_size 0
		.amdhsa_private_segment_fixed_size 0
		.amdhsa_kernarg_size 24
		.amdhsa_user_sgpr_count 6
		.amdhsa_user_sgpr_private_segment_buffer 1
		.amdhsa_user_sgpr_dispatch_ptr 0
		.amdhsa_user_sgpr_queue_ptr 0
		.amdhsa_user_sgpr_kernarg_segment_ptr 1
		.amdhsa_user_sgpr_dispatch_id 0
		.amdhsa_user_sgpr_flat_scratch_init 0
		.amdhsa_user_sgpr_private_segment_size 0
		.amdhsa_uses_dynamic_stack 0
		.amdhsa_system_sgpr_private_segment_wavefront_offset 0
		.amdhsa_system_sgpr_workgroup_id_x 1
		.amdhsa_system_sgpr_workgroup_id_y 1
		.amdhsa_system_sgpr_workgroup_id_z 0
		.amdhsa_system_sgpr_workgroup_info 0
		.amdhsa_system_vgpr_workitem_id 1
		.amdhsa_next_free_vgpr 47
		.amdhsa_next_free_sgpr 30
		.amdhsa_reserve_vcc 1
		.amdhsa_reserve_flat_scratch 0
		.amdhsa_float_round_mode_32 0
		.amdhsa_float_round_mode_16_64 0
		.amdhsa_float_denorm_mode_32 3
		.amdhsa_float_denorm_mode_16_64 3
		.amdhsa_dx10_clamp 1
		.amdhsa_ieee_mode 1
		.amdhsa_fp16_overflow 0
		.amdhsa_exception_fp_ieee_invalid_op 0
		.amdhsa_exception_fp_denorm_src 0
		.amdhsa_exception_fp_ieee_div_zero 0
		.amdhsa_exception_fp_ieee_overflow 0
		.amdhsa_exception_fp_ieee_underflow 0
		.amdhsa_exception_fp_ieee_inexact 0
		.amdhsa_exception_int_div_zero 0
	.end_amdhsa_kernel
	.text
.Lfunc_end12:
	.size	_Z25comm_aosoa_constants_permPK15HIP_vector_typeIfLj2EEPS0_S2_, .Lfunc_end12-_Z25comm_aosoa_constants_permPK15HIP_vector_typeIfLj2EEPS0_S2_
                                        ; -- End function
	.set _Z25comm_aosoa_constants_permPK15HIP_vector_typeIfLj2EEPS0_S2_.num_vgpr, 47
	.set _Z25comm_aosoa_constants_permPK15HIP_vector_typeIfLj2EEPS0_S2_.num_agpr, 0
	.set _Z25comm_aosoa_constants_permPK15HIP_vector_typeIfLj2EEPS0_S2_.numbered_sgpr, 30
	.set _Z25comm_aosoa_constants_permPK15HIP_vector_typeIfLj2EEPS0_S2_.num_named_barrier, 0
	.set _Z25comm_aosoa_constants_permPK15HIP_vector_typeIfLj2EEPS0_S2_.private_seg_size, 0
	.set _Z25comm_aosoa_constants_permPK15HIP_vector_typeIfLj2EEPS0_S2_.uses_vcc, 1
	.set _Z25comm_aosoa_constants_permPK15HIP_vector_typeIfLj2EEPS0_S2_.uses_flat_scratch, 0
	.set _Z25comm_aosoa_constants_permPK15HIP_vector_typeIfLj2EEPS0_S2_.has_dyn_sized_stack, 0
	.set _Z25comm_aosoa_constants_permPK15HIP_vector_typeIfLj2EEPS0_S2_.has_recursion, 0
	.set _Z25comm_aosoa_constants_permPK15HIP_vector_typeIfLj2EEPS0_S2_.has_indirect_call, 0
	.section	.AMDGPU.csdata,"",@progbits
; Kernel info:
; codeLenInByte = 1728
; TotalNumSgprs: 34
; NumVgprs: 47
; ScratchSize: 0
; MemoryBound: 0
; FloatMode: 240
; IeeeMode: 1
; LDSByteSize: 0 bytes/workgroup (compile time only)
; SGPRBlocks: 4
; VGPRBlocks: 11
; NumSGPRsForWavesPerEU: 34
; NumVGPRsForWavesPerEU: 47
; Occupancy: 5
; WaveLimiterHint : 1
; COMPUTE_PGM_RSRC2:SCRATCH_EN: 0
; COMPUTE_PGM_RSRC2:USER_SGPR: 6
; COMPUTE_PGM_RSRC2:TRAP_HANDLER: 0
; COMPUTE_PGM_RSRC2:TGID_X_EN: 1
; COMPUTE_PGM_RSRC2:TGID_Y_EN: 1
; COMPUTE_PGM_RSRC2:TGID_Z_EN: 0
; COMPUTE_PGM_RSRC2:TIDIG_COMP_CNT: 1
	.text
	.protected	_Z17comm_aosoa_directPK15HIP_vector_typeIfLj2EEPS0_S2_i ; -- Begin function _Z17comm_aosoa_directPK15HIP_vector_typeIfLj2EEPS0_S2_i
	.globl	_Z17comm_aosoa_directPK15HIP_vector_typeIfLj2EEPS0_S2_i
	.p2align	8
	.type	_Z17comm_aosoa_directPK15HIP_vector_typeIfLj2EEPS0_S2_i,@function
_Z17comm_aosoa_directPK15HIP_vector_typeIfLj2EEPS0_S2_i: ; @_Z17comm_aosoa_directPK15HIP_vector_typeIfLj2EEPS0_S2_i
; %bb.0:
	s_load_dword s6, s[4:5], 0x18
	s_waitcnt lgkmcnt(0)
	s_cmp_lt_i32 s6, 1
	s_cbranch_scc1 .LBB13_7
; %bb.1:
	s_load_dwordx4 s[0:3], s[4:5], 0x0
	s_load_dwordx2 s[8:9], s[4:5], 0x10
	s_lshl_b32 s22, s6, 4
	s_mul_i32 s4, s22, s6
	v_lshl_add_u32 v1, s7, 6, v1
	v_mul_lo_u32 v7, v1, s4
	s_mov_b32 s5, 0
	s_mul_i32 s23, s6, s6
	s_mov_b32 s7, s5
	v_add_u32_e32 v8, 8, v0
	s_lshl_b64 s[10:11], s[6:7], 2
	v_mov_b32_e32 v2, 0
	s_waitcnt lgkmcnt(0)
	v_mov_b32_e32 v9, s3
	v_mov_b32_e32 v10, s1
	;; [unrolled: 1-line block ×3, first 2 shown]
	s_mov_b64 s[12:13], s[8:9]
	s_mov_b32 s1, s23
	s_mov_b32 s3, 0
.LBB13_2:                               ; =>This Loop Header: Depth=1
                                        ;     Child Loop BB13_3 Depth 2
                                        ;       Child Loop BB13_4 Depth 3
	s_mul_i32 s7, s3, s6
	v_mov_b32_e32 v12, v0
	s_mov_b64 s[14:15], s[8:9]
	s_mov_b32 s24, s23
	s_mov_b32 s25, s5
.LBB13_3:                               ;   Parent Loop BB13_2 Depth=1
                                        ; =>  This Loop Header: Depth=2
                                        ;       Child Loop BB13_4 Depth 3
	s_add_i32 s4, s25, s7
	v_lshl_add_u32 v5, s4, 4, v7
	v_add_u32_e32 v1, v8, v5
	v_lshlrev_b64 v[3:4], 2, v[1:2]
	v_add_u32_e32 v1, v5, v0
	v_add_co_u32_e32 v3, vcc, s2, v3
	v_lshlrev_b64 v[5:6], 2, v[1:2]
	v_addc_co_u32_e32 v4, vcc, v9, v4, vcc
	v_add_co_u32_e32 v5, vcc, s2, v5
	v_addc_co_u32_e32 v6, vcc, v9, v6, vcc
	global_load_dword v16, v[3:4], off
	global_load_dword v13, v[5:6], off
	s_mov_b32 s26, 0
	v_mov_b32_e32 v14, v11
	s_mov_b64 s[16:17], s[12:13]
	v_mov_b32_e32 v15, v12
	s_mov_b64 s[18:19], s[14:15]
	s_mov_b32 s20, s24
.LBB13_4:                               ;   Parent Loop BB13_2 Depth=1
                                        ;     Parent Loop BB13_3 Depth=2
                                        ; =>    This Inner Loop Header: Depth=3
	v_add_u32_e32 v1, v7, v15
	v_lshlrev_b64 v[17:18], 2, v[1:2]
	s_load_dword s27, s[16:17], 0x0
	v_add_co_u32_e32 v17, vcc, s0, v17
	v_addc_co_u32_e32 v18, vcc, v10, v18, vcc
	global_load_dword v19, v[17:18], off
	v_mov_b32_e32 v17, v2
	v_add_u32_e32 v1, 8, v1
	s_add_i32 s4, s1, s26
	s_lshl_b64 s[28:29], s[4:5], 2
	s_add_u32 s28, s8, s28
	s_addc_u32 s29, s9, s29
	s_ashr_i32 s21, s20, 31
	s_load_dword s4, s[28:29], 0x0
	s_lshl_b64 s[28:29], s[20:21], 2
	s_add_u32 s28, s8, s28
	s_addc_u32 s29, s9, s29
	s_load_dword s30, s[18:19], 0x0
	s_load_dword s21, s[28:29], 0x0
	s_add_i32 s26, s26, 1
	s_add_i32 s20, s20, s6
	s_add_u32 s18, s18, s10
	s_addc_u32 s19, s19, s11
	s_add_u32 s16, s16, 4
	s_addc_u32 s17, s17, 0
	v_add_u32_e32 v15, s22, v15
	s_cmp_eq_u32 s6, s26
	s_waitcnt vmcnt(0) lgkmcnt(0)
	v_fma_f32 v20, -s27, v19, v16
	v_add_u32_e32 v16, v7, v14
	v_lshlrev_b64 v[17:18], 2, v[16:17]
	v_add_u32_e32 v14, 16, v14
	v_add_co_u32_e32 v17, vcc, s0, v17
	v_addc_co_u32_e32 v18, vcc, v10, v18, vcc
	global_load_dword v21, v[17:18], off
	v_lshlrev_b64 v[17:18], 2, v[1:2]
	v_add_u32_e32 v1, 8, v16
	v_add_co_u32_e32 v17, vcc, s0, v17
	v_addc_co_u32_e32 v18, vcc, v10, v18, vcc
	global_load_dword v18, v[17:18], off
	v_lshlrev_b64 v[16:17], 2, v[1:2]
	v_add_co_u32_e32 v16, vcc, s0, v16
	v_addc_co_u32_e32 v17, vcc, v10, v17, vcc
	global_load_dword v1, v[16:17], off
	s_waitcnt vmcnt(2)
	v_fmac_f32_e32 v20, s30, v21
	s_waitcnt vmcnt(1)
	v_fmac_f32_e32 v13, s27, v18
	v_fma_f32 v13, -v21, s21, v13
	v_fmac_f32_e32 v20, s4, v18
	v_fmac_f32_e32 v13, s4, v19
	s_waitcnt vmcnt(0)
	v_fma_f32 v16, -v1, s21, v20
	v_fma_f32 v13, -s30, v1, v13
	s_cbranch_scc0 .LBB13_4
; %bb.5:                                ;   in Loop: Header=BB13_3 Depth=2
	s_add_i32 s25, s25, 1
	s_add_i32 s24, s24, 1
	s_add_u32 s14, s14, 4
	s_addc_u32 s15, s15, 0
	s_cmp_eq_u32 s25, s6
	v_add_u32_e32 v12, 16, v12
	global_store_dword v[3:4], v16, off
	global_store_dword v[5:6], v13, off
	s_cbranch_scc0 .LBB13_3
; %bb.6:                                ;   in Loop: Header=BB13_2 Depth=1
	s_add_i32 s3, s3, 1
	s_add_i32 s1, s1, s6
	s_add_u32 s12, s12, s10
	s_addc_u32 s13, s13, s11
	s_cmp_eq_u32 s3, s6
	v_add_u32_e32 v11, s22, v11
	s_cbranch_scc0 .LBB13_2
.LBB13_7:
	s_endpgm
	.section	.rodata,"a",@progbits
	.p2align	6, 0x0
	.amdhsa_kernel _Z17comm_aosoa_directPK15HIP_vector_typeIfLj2EEPS0_S2_i
		.amdhsa_group_segment_fixed_size 0
		.amdhsa_private_segment_fixed_size 0
		.amdhsa_kernarg_size 28
		.amdhsa_user_sgpr_count 6
		.amdhsa_user_sgpr_private_segment_buffer 1
		.amdhsa_user_sgpr_dispatch_ptr 0
		.amdhsa_user_sgpr_queue_ptr 0
		.amdhsa_user_sgpr_kernarg_segment_ptr 1
		.amdhsa_user_sgpr_dispatch_id 0
		.amdhsa_user_sgpr_flat_scratch_init 0
		.amdhsa_user_sgpr_private_segment_size 0
		.amdhsa_uses_dynamic_stack 0
		.amdhsa_system_sgpr_private_segment_wavefront_offset 0
		.amdhsa_system_sgpr_workgroup_id_x 1
		.amdhsa_system_sgpr_workgroup_id_y 1
		.amdhsa_system_sgpr_workgroup_id_z 0
		.amdhsa_system_sgpr_workgroup_info 0
		.amdhsa_system_vgpr_workitem_id 1
		.amdhsa_next_free_vgpr 22
		.amdhsa_next_free_sgpr 31
		.amdhsa_reserve_vcc 1
		.amdhsa_reserve_flat_scratch 0
		.amdhsa_float_round_mode_32 0
		.amdhsa_float_round_mode_16_64 0
		.amdhsa_float_denorm_mode_32 3
		.amdhsa_float_denorm_mode_16_64 3
		.amdhsa_dx10_clamp 1
		.amdhsa_ieee_mode 1
		.amdhsa_fp16_overflow 0
		.amdhsa_exception_fp_ieee_invalid_op 0
		.amdhsa_exception_fp_denorm_src 0
		.amdhsa_exception_fp_ieee_div_zero 0
		.amdhsa_exception_fp_ieee_overflow 0
		.amdhsa_exception_fp_ieee_underflow 0
		.amdhsa_exception_fp_ieee_inexact 0
		.amdhsa_exception_int_div_zero 0
	.end_amdhsa_kernel
	.text
.Lfunc_end13:
	.size	_Z17comm_aosoa_directPK15HIP_vector_typeIfLj2EEPS0_S2_i, .Lfunc_end13-_Z17comm_aosoa_directPK15HIP_vector_typeIfLj2EEPS0_S2_i
                                        ; -- End function
	.set _Z17comm_aosoa_directPK15HIP_vector_typeIfLj2EEPS0_S2_i.num_vgpr, 22
	.set _Z17comm_aosoa_directPK15HIP_vector_typeIfLj2EEPS0_S2_i.num_agpr, 0
	.set _Z17comm_aosoa_directPK15HIP_vector_typeIfLj2EEPS0_S2_i.numbered_sgpr, 31
	.set _Z17comm_aosoa_directPK15HIP_vector_typeIfLj2EEPS0_S2_i.num_named_barrier, 0
	.set _Z17comm_aosoa_directPK15HIP_vector_typeIfLj2EEPS0_S2_i.private_seg_size, 0
	.set _Z17comm_aosoa_directPK15HIP_vector_typeIfLj2EEPS0_S2_i.uses_vcc, 1
	.set _Z17comm_aosoa_directPK15HIP_vector_typeIfLj2EEPS0_S2_i.uses_flat_scratch, 0
	.set _Z17comm_aosoa_directPK15HIP_vector_typeIfLj2EEPS0_S2_i.has_dyn_sized_stack, 0
	.set _Z17comm_aosoa_directPK15HIP_vector_typeIfLj2EEPS0_S2_i.has_recursion, 0
	.set _Z17comm_aosoa_directPK15HIP_vector_typeIfLj2EEPS0_S2_i.has_indirect_call, 0
	.section	.AMDGPU.csdata,"",@progbits
; Kernel info:
; codeLenInByte = 584
; TotalNumSgprs: 35
; NumVgprs: 22
; ScratchSize: 0
; MemoryBound: 0
; FloatMode: 240
; IeeeMode: 1
; LDSByteSize: 0 bytes/workgroup (compile time only)
; SGPRBlocks: 4
; VGPRBlocks: 5
; NumSGPRsForWavesPerEU: 35
; NumVGPRsForWavesPerEU: 22
; Occupancy: 10
; WaveLimiterHint : 0
; COMPUTE_PGM_RSRC2:SCRATCH_EN: 0
; COMPUTE_PGM_RSRC2:USER_SGPR: 6
; COMPUTE_PGM_RSRC2:TRAP_HANDLER: 0
; COMPUTE_PGM_RSRC2:TGID_X_EN: 1
; COMPUTE_PGM_RSRC2:TGID_Y_EN: 1
; COMPUTE_PGM_RSRC2:TGID_Z_EN: 0
; COMPUTE_PGM_RSRC2:TIDIG_COMP_CNT: 1
	.text
	.protected	_Z27comm_aosoa_constants_directPK15HIP_vector_typeIfLj2EEPS0_S2_ ; -- Begin function _Z27comm_aosoa_constants_directPK15HIP_vector_typeIfLj2EEPS0_S2_
	.globl	_Z27comm_aosoa_constants_directPK15HIP_vector_typeIfLj2EEPS0_S2_
	.p2align	8
	.type	_Z27comm_aosoa_constants_directPK15HIP_vector_typeIfLj2EEPS0_S2_,@function
_Z27comm_aosoa_constants_directPK15HIP_vector_typeIfLj2EEPS0_S2_: ; @_Z27comm_aosoa_constants_directPK15HIP_vector_typeIfLj2EEPS0_S2_
; %bb.0:
	s_load_dwordx4 s[0:3], s[4:5], 0x0
	s_load_dwordx2 s[12:13], s[4:5], 0x10
	v_lshl_add_u32 v2, s7, 6, v1
	s_movk_i32 s4, 0x310
	v_mul_lo_u32 v7, v2, s4
	s_mul_i32 s7, s7, 0xc400
	v_or_b32_e32 v2, s7, v0
	v_mad_u32_u24 v9, v1, s4, v2
	s_waitcnt lgkmcnt(0)
	s_add_u32 s14, s12, 0x16c
	v_add_u32_e32 v8, 8, v0
	s_addc_u32 s15, s13, 0
	s_mov_b32 s17, 0
	v_mov_b32_e32 v2, 0
	v_mov_b32_e32 v10, s1
	;; [unrolled: 1-line block ×3, first 2 shown]
	s_mov_b32 s24, 0
.LBB14_1:                               ; =>This Loop Header: Depth=1
                                        ;     Child Loop BB14_2 Depth 2
	s_mul_i32 s16, s24, 7
	s_lshl_b64 s[4:5], s[16:17], 2
	s_add_u32 s22, s12, s4
	s_mul_i32 s4, s24, 0x70
	v_add_u32_e32 v5, s4, v7
	v_add_u32_e32 v1, v5, v0
	v_lshlrev_b64 v[3:4], 2, v[1:2]
	s_addc_u32 s23, s13, s5
	v_add_u32_e32 v1, v8, v5
	s_lshl_b32 s4, s16, 4
	v_add_co_u32_e32 v3, vcc, s0, v3
	v_lshlrev_b64 v[5:6], 2, v[1:2]
	v_add3_u32 v14, s4, 16, v7
	v_addc_co_u32_e32 v4, vcc, v10, v4, vcc
	v_add_u32_e32 v1, v14, v0
	v_add_co_u32_e32 v5, vcc, s0, v5
	v_lshlrev_b64 v[12:13], 2, v[1:2]
	v_addc_co_u32_e32 v6, vcc, v10, v6, vcc
	v_add_co_u32_e32 v20, vcc, s0, v12
	v_add_u32_e32 v1, v8, v14
	v_addc_co_u32_e32 v21, vcc, v10, v13, vcc
	v_lshlrev_b64 v[12:13], 2, v[1:2]
	v_add3_u32 v14, s4, 32, v7
	v_add_co_u32_e32 v22, vcc, s0, v12
	v_add_u32_e32 v1, v14, v0
	v_addc_co_u32_e32 v23, vcc, v10, v13, vcc
	v_lshlrev_b64 v[12:13], 2, v[1:2]
	v_add_u32_e32 v1, v8, v14
	v_add_co_u32_e32 v24, vcc, s0, v12
	v_addc_co_u32_e32 v25, vcc, v10, v13, vcc
	v_lshlrev_b64 v[12:13], 2, v[1:2]
	v_add3_u32 v14, s4, 48, v7
	v_add_co_u32_e32 v26, vcc, s0, v12
	v_add_u32_e32 v1, v14, v0
	v_addc_co_u32_e32 v27, vcc, v10, v13, vcc
	v_lshlrev_b64 v[12:13], 2, v[1:2]
	v_add_u32_e32 v1, v8, v14
	v_add_co_u32_e32 v28, vcc, s0, v12
	v_addc_co_u32_e32 v29, vcc, v10, v13, vcc
	v_lshlrev_b64 v[12:13], 2, v[1:2]
	s_add_i32 s5, s4, 0x50
	v_add_co_u32_e32 v30, vcc, s0, v12
	v_addc_co_u32_e32 v31, vcc, v10, v13, vcc
	global_load_dword v12, v[3:4], off
	global_load_dword v13, v[5:6], off
	;; [unrolled: 1-line block ×8, first 2 shown]
	v_add3_u32 v5, s4, 64, v7
	v_add_u32_e32 v1, v5, v0
	v_lshlrev_b64 v[3:4], 2, v[1:2]
	v_add_u32_e32 v1, v8, v5
	v_add_co_u32_e32 v3, vcc, s0, v3
	v_lshlrev_b64 v[5:6], 2, v[1:2]
	v_add_u32_e32 v22, s5, v7
	v_addc_co_u32_e32 v4, vcc, v10, v4, vcc
	v_add_u32_e32 v1, v22, v0
	v_add_co_u32_e32 v5, vcc, s0, v5
	v_lshlrev_b64 v[20:21], 2, v[1:2]
	v_addc_co_u32_e32 v6, vcc, v10, v6, vcc
	v_add_co_u32_e32 v25, vcc, s0, v20
	v_add_u32_e32 v1, v8, v22
	v_addc_co_u32_e32 v26, vcc, v10, v21, vcc
	v_lshlrev_b64 v[20:21], 2, v[1:2]
	s_addk_i32 s4, 0x60
	v_add_u32_e32 v22, s4, v7
	v_add_co_u32_e32 v27, vcc, s0, v20
	v_add_u32_e32 v1, v22, v0
	v_addc_co_u32_e32 v28, vcc, v10, v21, vcc
	v_lshlrev_b64 v[20:21], 2, v[1:2]
	v_add_u32_e32 v1, v8, v22
	v_add_co_u32_e32 v29, vcc, s0, v20
	v_addc_co_u32_e32 v30, vcc, v10, v21, vcc
	v_lshlrev_b64 v[20:21], 2, v[1:2]
	s_mov_b32 s26, 0
	v_add_co_u32_e32 v31, vcc, s0, v20
	v_addc_co_u32_e32 v32, vcc, v10, v21, vcc
	global_load_dword v20, v[3:4], off
	global_load_dword v21, v[5:6], off
	;; [unrolled: 1-line block ×5, first 2 shown]
                                        ; kill: killed $vgpr25 killed $vgpr26
                                        ; kill: killed $vgpr27 killed $vgpr28
                                        ; kill: killed $vgpr29 killed $vgpr30
                                        ; kill: killed $vgpr3 killed $vgpr4
                                        ; kill: killed $vgpr5 killed $vgpr6
	s_nop 0
	global_load_dword v25, v[31:32], off
	s_load_dwordx4 s[4:7], s[22:23], 0x0
	s_load_dwordx2 s[18:19], s[22:23], 0x10
	s_load_dword s16, s[22:23], 0x18
	s_load_dwordx4 s[8:11], s[22:23], 0xc4
	s_load_dwordx2 s[20:21], s[22:23], 0xd4
	s_load_dword s25, s[22:23], 0xdc
	s_mov_b64 s[22:23], s[14:15]
.LBB14_2:                               ;   Parent Loop BB14_1 Depth=1
                                        ; =>  This Inner Loop Header: Depth=2
	v_add_u32_e32 v5, s26, v11
	v_add_u32_e32 v1, 8, v5
	v_lshlrev_b64 v[3:4], 2, v[1:2]
	v_mov_b32_e32 v6, v2
	v_add_co_u32_e32 v3, vcc, s2, v3
	v_mov_b32_e32 v1, s3
	v_lshlrev_b64 v[5:6], 2, v[5:6]
	v_addc_co_u32_e32 v4, vcc, v1, v4, vcc
	v_add_co_u32_e32 v5, vcc, s2, v5
	v_addc_co_u32_e32 v6, vcc, v1, v6, vcc
	v_add_u32_e32 v1, s26, v9
	v_lshlrev_b64 v[26:27], 2, v[1:2]
	global_load_dword v30, v[3:4], off
	global_load_dword v31, v[5:6], off
	v_add_co_u32_e32 v28, vcc, s0, v26
	v_mov_b32_e32 v26, s1
	v_addc_co_u32_e32 v29, vcc, v26, v27, vcc
	global_load_dword v29, v[28:29], off
	v_add_u32_e32 v27, 8, v1
	v_mov_b32_e32 v28, v2
	v_lshlrev_b64 v[27:28], 2, v[27:28]
	s_add_u32 s28, s22, 0xfffffe94
	v_add_co_u32_e32 v27, vcc, s0, v27
	v_addc_co_u32_e32 v28, vcc, v26, v28, vcc
	global_load_dword v27, v[27:28], off
	s_addc_u32 s29, s23, -1
	s_load_dword s27, s[28:29], 0x0
	s_add_u32 s28, s22, 0xffffff58
	s_addc_u32 s29, s23, -1
	s_load_dword s28, s[28:29], 0x0
	v_mov_b32_e32 v28, v2
	s_waitcnt vmcnt(1) lgkmcnt(0)
	v_fma_f32 v30, -s4, v29, v30
	v_fmac_f32_e32 v30, s27, v12
	s_waitcnt vmcnt(0)
	v_fmac_f32_e32 v31, s4, v27
	v_fmac_f32_e32 v30, s8, v27
	v_fma_f32 v27, -v12, s28, v31
	v_fmac_f32_e32 v27, s8, v29
	v_fma_f32 v29, -s27, v13, v27
	v_add_u32_e32 v27, 0x70, v1
	v_lshlrev_b64 v[27:28], 2, v[27:28]
	v_fma_f32 v30, -v13, s28, v30
	v_add_co_u32_e32 v27, vcc, s0, v27
	v_addc_co_u32_e32 v28, vcc, v26, v28, vcc
	global_load_dword v31, v[27:28], off
	v_add_u32_e32 v27, 0x78, v1
	v_mov_b32_e32 v28, v2
	v_lshlrev_b64 v[27:28], 2, v[27:28]
	s_add_u32 s28, s22, 0xfffffeb0
	v_add_co_u32_e32 v27, vcc, s0, v27
	v_addc_co_u32_e32 v28, vcc, v26, v28, vcc
	global_load_dword v27, v[27:28], off
	s_addc_u32 s29, s23, -1
	s_load_dword s27, s[28:29], 0x0
	s_add_u32 s28, s22, 0xffffff74
	s_addc_u32 s29, s23, -1
	s_load_dword s28, s[28:29], 0x0
	v_mov_b32_e32 v28, v2
	s_waitcnt vmcnt(1)
	v_fma_f32 v30, -s5, v31, v30
	s_waitcnt lgkmcnt(0)
	v_fmac_f32_e32 v30, s27, v14
	s_waitcnt vmcnt(0)
	v_fmac_f32_e32 v29, s5, v27
	v_fmac_f32_e32 v30, s9, v27
	v_fma_f32 v27, -v14, s28, v29
	v_fmac_f32_e32 v27, s9, v31
	v_fma_f32 v29, -s27, v15, v27
	v_add_u32_e32 v27, 0xe0, v1
	v_lshlrev_b64 v[27:28], 2, v[27:28]
	v_fma_f32 v30, -v15, s28, v30
	v_add_co_u32_e32 v27, vcc, s0, v27
	v_addc_co_u32_e32 v28, vcc, v26, v28, vcc
	global_load_dword v31, v[27:28], off
	v_add_u32_e32 v27, 0xe8, v1
	v_mov_b32_e32 v28, v2
	v_lshlrev_b64 v[27:28], 2, v[27:28]
	s_add_u32 s28, s22, 0xfffffecc
	v_add_co_u32_e32 v27, vcc, s0, v27
	v_addc_co_u32_e32 v28, vcc, v26, v28, vcc
	global_load_dword v27, v[27:28], off
	s_addc_u32 s29, s23, -1
	s_load_dword s27, s[28:29], 0x0
	s_add_u32 s28, s22, 0xffffff90
	s_addc_u32 s29, s23, -1
	s_load_dword s28, s[28:29], 0x0
	v_mov_b32_e32 v28, v2
	s_waitcnt vmcnt(1)
	v_fma_f32 v30, -s6, v31, v30
	s_waitcnt lgkmcnt(0)
	v_fmac_f32_e32 v30, s27, v16
	s_waitcnt vmcnt(0)
	v_fmac_f32_e32 v29, s6, v27
	v_fmac_f32_e32 v30, s10, v27
	v_fma_f32 v27, -v16, s28, v29
	v_fmac_f32_e32 v27, s10, v31
	v_fma_f32 v29, -s27, v17, v27
	v_add_u32_e32 v27, 0x150, v1
	v_lshlrev_b64 v[27:28], 2, v[27:28]
	v_fma_f32 v30, -v17, s28, v30
	v_add_co_u32_e32 v27, vcc, s0, v27
	v_addc_co_u32_e32 v28, vcc, v26, v28, vcc
	global_load_dword v31, v[27:28], off
	v_add_u32_e32 v27, 0x158, v1
	v_mov_b32_e32 v28, v2
	v_lshlrev_b64 v[27:28], 2, v[27:28]
	s_add_u32 s28, s22, 0xfffffee8
	v_add_co_u32_e32 v27, vcc, s0, v27
	v_addc_co_u32_e32 v28, vcc, v26, v28, vcc
	global_load_dword v27, v[27:28], off
	s_addc_u32 s29, s23, -1
	s_load_dword s27, s[28:29], 0x0
	s_add_u32 s28, s22, 0xffffffac
	s_addc_u32 s29, s23, -1
	s_load_dword s28, s[28:29], 0x0
	v_mov_b32_e32 v28, v2
	s_waitcnt vmcnt(1)
	v_fma_f32 v30, -s7, v31, v30
	s_waitcnt lgkmcnt(0)
	v_fmac_f32_e32 v30, s27, v18
	s_waitcnt vmcnt(0)
	v_fmac_f32_e32 v29, s7, v27
	v_fmac_f32_e32 v30, s11, v27
	v_fma_f32 v27, -v18, s28, v29
	v_fmac_f32_e32 v27, s11, v31
	v_fma_f32 v29, -s27, v19, v27
	v_add_u32_e32 v27, 0x1c0, v1
	v_lshlrev_b64 v[27:28], 2, v[27:28]
	v_fma_f32 v30, -v19, s28, v30
	v_add_co_u32_e32 v27, vcc, s0, v27
	v_addc_co_u32_e32 v28, vcc, v26, v28, vcc
	global_load_dword v31, v[27:28], off
	v_add_u32_e32 v27, 0x1c8, v1
	v_mov_b32_e32 v28, v2
	v_lshlrev_b64 v[27:28], 2, v[27:28]
	s_add_u32 s28, s22, 0xffffff04
	v_add_co_u32_e32 v27, vcc, s0, v27
	v_addc_co_u32_e32 v28, vcc, v26, v28, vcc
	global_load_dword v27, v[27:28], off
	s_addc_u32 s29, s23, -1
	s_load_dword s27, s[28:29], 0x0
	s_add_u32 s28, s22, 0xffffffc8
	s_addc_u32 s29, s23, -1
	s_load_dword s28, s[28:29], 0x0
	v_mov_b32_e32 v28, v2
	s_waitcnt vmcnt(1)
	v_fma_f32 v30, -s18, v31, v30
	s_waitcnt lgkmcnt(0)
	v_fmac_f32_e32 v30, s27, v20
	s_waitcnt vmcnt(0)
	v_fmac_f32_e32 v29, s18, v27
	v_fmac_f32_e32 v30, s20, v27
	v_fma_f32 v27, -v20, s28, v29
	v_fmac_f32_e32 v27, s20, v31
	v_fma_f32 v29, -s27, v21, v27
	v_add_u32_e32 v27, 0x230, v1
	v_lshlrev_b64 v[27:28], 2, v[27:28]
	v_fma_f32 v30, -v21, s28, v30
	v_add_co_u32_e32 v27, vcc, s0, v27
	v_addc_co_u32_e32 v28, vcc, v26, v28, vcc
	global_load_dword v31, v[27:28], off
	v_add_u32_e32 v27, 0x238, v1
	v_mov_b32_e32 v28, v2
	v_lshlrev_b64 v[27:28], 2, v[27:28]
	s_add_u32 s28, s22, 0xffffff20
	v_add_co_u32_e32 v27, vcc, s0, v27
	v_addc_co_u32_e32 v28, vcc, v26, v28, vcc
	global_load_dword v27, v[27:28], off
	s_addc_u32 s29, s23, -1
	s_load_dword s27, s[28:29], 0x0
	s_add_u32 s28, s22, 0xffffffe4
	s_addc_u32 s29, s23, -1
	s_load_dword s28, s[28:29], 0x0
	v_add_u32_e32 v28, 0x2a0, v1
	v_add_u32_e32 v1, 0x2a8, v1
	s_waitcnt vmcnt(1)
	v_fma_f32 v30, -s19, v31, v30
	s_waitcnt lgkmcnt(0)
	v_fmac_f32_e32 v30, s27, v22
	s_waitcnt vmcnt(0)
	v_fmac_f32_e32 v29, s19, v27
	v_fmac_f32_e32 v30, s21, v27
	v_fma_f32 v27, -v22, s28, v29
	v_mov_b32_e32 v29, v2
	v_lshlrev_b64 v[28:29], 2, v[28:29]
	v_fma_f32 v30, -v23, s28, v30
	v_add_co_u32_e32 v28, vcc, s0, v28
	v_addc_co_u32_e32 v29, vcc, v26, v29, vcc
	global_load_dword v28, v[28:29], off
	v_fmac_f32_e32 v27, s21, v31
	s_add_u32 s28, s22, 0xffffff3c
	s_addc_u32 s29, s23, -1
	v_fma_f32 v27, -s27, v23, v27
	s_load_dword s27, s[28:29], 0x0
	s_add_i32 s26, s26, 16
	s_load_dword s28, s[22:23], 0x0
	s_add_u32 s22, s22, 4
	s_addc_u32 s23, s23, 0
	s_cmpk_lg_i32 s26, 0x70
	s_waitcnt vmcnt(0)
	v_fma_f32 v31, -s16, v28, v30
	v_lshlrev_b64 v[29:30], 2, v[1:2]
	s_waitcnt lgkmcnt(0)
	v_fmac_f32_e32 v31, s27, v24
	v_add_co_u32_e32 v29, vcc, s0, v29
	v_addc_co_u32_e32 v30, vcc, v26, v30, vcc
	global_load_dword v1, v[29:30], off
	s_waitcnt vmcnt(0)
	v_fmac_f32_e32 v27, s16, v1
	v_fmac_f32_e32 v31, s25, v1
	v_fma_f32 v1, -v24, s28, v27
	v_fma_f32 v26, -v25, s28, v31
	v_fmac_f32_e32 v1, s25, v28
	v_fma_f32 v1, -s27, v25, v1
	global_store_dword v[3:4], v26, off
	global_store_dword v[5:6], v1, off
	s_cbranch_scc1 .LBB14_2
; %bb.3:                                ;   in Loop: Header=BB14_1 Depth=1
	s_add_i32 s24, s24, 1
	s_cmp_eq_u32 s24, 7
	v_add_u32_e32 v11, 0x70, v11
	s_cbranch_scc0 .LBB14_1
; %bb.4:
	s_endpgm
	.section	.rodata,"a",@progbits
	.p2align	6, 0x0
	.amdhsa_kernel _Z27comm_aosoa_constants_directPK15HIP_vector_typeIfLj2EEPS0_S2_
		.amdhsa_group_segment_fixed_size 0
		.amdhsa_private_segment_fixed_size 0
		.amdhsa_kernarg_size 24
		.amdhsa_user_sgpr_count 6
		.amdhsa_user_sgpr_private_segment_buffer 1
		.amdhsa_user_sgpr_dispatch_ptr 0
		.amdhsa_user_sgpr_queue_ptr 0
		.amdhsa_user_sgpr_kernarg_segment_ptr 1
		.amdhsa_user_sgpr_dispatch_id 0
		.amdhsa_user_sgpr_flat_scratch_init 0
		.amdhsa_user_sgpr_private_segment_size 0
		.amdhsa_uses_dynamic_stack 0
		.amdhsa_system_sgpr_private_segment_wavefront_offset 0
		.amdhsa_system_sgpr_workgroup_id_x 1
		.amdhsa_system_sgpr_workgroup_id_y 1
		.amdhsa_system_sgpr_workgroup_id_z 0
		.amdhsa_system_sgpr_workgroup_info 0
		.amdhsa_system_vgpr_workitem_id 1
		.amdhsa_next_free_vgpr 33
		.amdhsa_next_free_sgpr 30
		.amdhsa_reserve_vcc 1
		.amdhsa_reserve_flat_scratch 0
		.amdhsa_float_round_mode_32 0
		.amdhsa_float_round_mode_16_64 0
		.amdhsa_float_denorm_mode_32 3
		.amdhsa_float_denorm_mode_16_64 3
		.amdhsa_dx10_clamp 1
		.amdhsa_ieee_mode 1
		.amdhsa_fp16_overflow 0
		.amdhsa_exception_fp_ieee_invalid_op 0
		.amdhsa_exception_fp_denorm_src 0
		.amdhsa_exception_fp_ieee_div_zero 0
		.amdhsa_exception_fp_ieee_overflow 0
		.amdhsa_exception_fp_ieee_underflow 0
		.amdhsa_exception_fp_ieee_inexact 0
		.amdhsa_exception_int_div_zero 0
	.end_amdhsa_kernel
	.text
.Lfunc_end14:
	.size	_Z27comm_aosoa_constants_directPK15HIP_vector_typeIfLj2EEPS0_S2_, .Lfunc_end14-_Z27comm_aosoa_constants_directPK15HIP_vector_typeIfLj2EEPS0_S2_
                                        ; -- End function
	.set _Z27comm_aosoa_constants_directPK15HIP_vector_typeIfLj2EEPS0_S2_.num_vgpr, 33
	.set _Z27comm_aosoa_constants_directPK15HIP_vector_typeIfLj2EEPS0_S2_.num_agpr, 0
	.set _Z27comm_aosoa_constants_directPK15HIP_vector_typeIfLj2EEPS0_S2_.numbered_sgpr, 30
	.set _Z27comm_aosoa_constants_directPK15HIP_vector_typeIfLj2EEPS0_S2_.num_named_barrier, 0
	.set _Z27comm_aosoa_constants_directPK15HIP_vector_typeIfLj2EEPS0_S2_.private_seg_size, 0
	.set _Z27comm_aosoa_constants_directPK15HIP_vector_typeIfLj2EEPS0_S2_.uses_vcc, 1
	.set _Z27comm_aosoa_constants_directPK15HIP_vector_typeIfLj2EEPS0_S2_.uses_flat_scratch, 0
	.set _Z27comm_aosoa_constants_directPK15HIP_vector_typeIfLj2EEPS0_S2_.has_dyn_sized_stack, 0
	.set _Z27comm_aosoa_constants_directPK15HIP_vector_typeIfLj2EEPS0_S2_.has_recursion, 0
	.set _Z27comm_aosoa_constants_directPK15HIP_vector_typeIfLj2EEPS0_S2_.has_indirect_call, 0
	.section	.AMDGPU.csdata,"",@progbits
; Kernel info:
; codeLenInByte = 1932
; TotalNumSgprs: 34
; NumVgprs: 33
; ScratchSize: 0
; MemoryBound: 0
; FloatMode: 240
; IeeeMode: 1
; LDSByteSize: 0 bytes/workgroup (compile time only)
; SGPRBlocks: 4
; VGPRBlocks: 8
; NumSGPRsForWavesPerEU: 34
; NumVGPRsForWavesPerEU: 33
; Occupancy: 7
; WaveLimiterHint : 0
; COMPUTE_PGM_RSRC2:SCRATCH_EN: 0
; COMPUTE_PGM_RSRC2:USER_SGPR: 6
; COMPUTE_PGM_RSRC2:TRAP_HANDLER: 0
; COMPUTE_PGM_RSRC2:TGID_X_EN: 1
; COMPUTE_PGM_RSRC2:TGID_Y_EN: 1
; COMPUTE_PGM_RSRC2:TGID_Z_EN: 0
; COMPUTE_PGM_RSRC2:TIDIG_COMP_CNT: 1
	.text
	.protected	_Z32comm_aosoa_constants_direct_permPK15HIP_vector_typeIfLj2EEPS0_S2_ ; -- Begin function _Z32comm_aosoa_constants_direct_permPK15HIP_vector_typeIfLj2EEPS0_S2_
	.globl	_Z32comm_aosoa_constants_direct_permPK15HIP_vector_typeIfLj2EEPS0_S2_
	.p2align	8
	.type	_Z32comm_aosoa_constants_direct_permPK15HIP_vector_typeIfLj2EEPS0_S2_,@function
_Z32comm_aosoa_constants_direct_permPK15HIP_vector_typeIfLj2EEPS0_S2_: ; @_Z32comm_aosoa_constants_direct_permPK15HIP_vector_typeIfLj2EEPS0_S2_
; %bb.0:
	s_load_dwordx4 s[0:3], s[4:5], 0x0
	s_load_dwordx2 s[12:13], s[4:5], 0x10
	v_lshl_add_u32 v2, s7, 6, v1
	s_movk_i32 s4, 0x310
	v_mul_lo_u32 v31, v2, s4
	s_mul_i32 s7, s7, 0xc400
	v_or_b32_e32 v34, s7, v0
	v_add_u32_e32 v32, 8, v0
	v_mul_u32_u24_e32 v33, 0x310, v1
	s_mov_b32 s24, 0
	s_mov_b64 s[14:15], 0xc4
	v_mov_b32_e32 v2, 0
	s_waitcnt lgkmcnt(0)
	v_mov_b32_e32 v35, s3
	v_mov_b32_e32 v36, v34
.LBB15_1:                               ; =>This Loop Header: Depth=1
                                        ;     Child Loop BB15_2 Depth 2
	s_mul_i32 s3, s24, 0x70
	v_add_u32_e32 v27, s3, v31
	v_add_u32_e32 v1, v32, v27
	v_lshlrev_b64 v[3:4], 2, v[1:2]
	v_add_u32_e32 v1, v27, v0
	v_add_co_u32_e32 v3, vcc, s2, v3
	v_lshlrev_b64 v[5:6], 2, v[1:2]
	v_add_u32_e32 v9, 16, v27
	v_addc_co_u32_e32 v4, vcc, v35, v4, vcc
	v_add_u32_e32 v1, v32, v9
	v_add_co_u32_e32 v5, vcc, s2, v5
	v_lshlrev_b64 v[7:8], 2, v[1:2]
	v_addc_co_u32_e32 v6, vcc, v35, v6, vcc
	v_add_u32_e32 v1, v9, v0
	v_add_co_u32_e32 v7, vcc, s2, v7
	v_lshlrev_b64 v[9:10], 2, v[1:2]
	v_add_u32_e32 v13, 32, v27
	v_addc_co_u32_e32 v8, vcc, v35, v8, vcc
	v_add_u32_e32 v1, v32, v13
	v_add_co_u32_e32 v9, vcc, s2, v9
	v_lshlrev_b64 v[11:12], 2, v[1:2]
	v_addc_co_u32_e32 v10, vcc, v35, v10, vcc
	;; [unrolled: 9-line block ×6, first 2 shown]
	v_add_u32_e32 v1, v29, v0
	v_add_co_u32_e32 v27, vcc, s2, v27
	v_lshlrev_b64 v[29:30], 2, v[1:2]
	v_addc_co_u32_e32 v28, vcc, v35, v28, vcc
	v_add_co_u32_e32 v29, vcc, s2, v29
	v_addc_co_u32_e32 v30, vcc, v35, v30, vcc
	s_mov_b64 s[16:17], 0
	s_mov_b64 s[18:19], s[14:15]
	v_mov_b32_e32 v37, v36
	v_mov_b32_e32 v38, v34
.LBB15_2:                               ;   Parent Loop BB15_1 Depth=1
                                        ; =>  This Inner Loop Header: Depth=2
	v_add_u32_e32 v1, v33, v37
	v_lshlrev_b64 v[39:40], 2, v[1:2]
	v_add_u32_e32 v1, 8, v1
	s_add_u32 s4, s12, s18
	v_add_co_u32_e32 v39, vcc, s0, v39
	v_mov_b32_e32 v41, s1
	v_lshlrev_b64 v[42:43], 2, v[1:2]
	s_addc_u32 s5, s13, s19
	v_addc_co_u32_e32 v40, vcc, v41, v40, vcc
	s_add_u32 s6, s4, 0xffffff3c
	v_add_co_u32_e32 v42, vcc, s0, v42
	s_addc_u32 s7, s5, -1
	v_addc_co_u32_e32 v43, vcc, v41, v43, vcc
	v_add_u32_e32 v1, v33, v38
	s_load_dword s25, s[6:7], 0x0
	s_load_dword s3, s[4:5], 0x0
	global_load_dword v39, v[39:40], off
	s_add_u32 s28, s12, s16
	global_load_dword v40, v[42:43], off
	v_lshlrev_b64 v[42:43], 2, v[1:2]
	s_addc_u32 s29, s13, s17
	v_add_co_u32_e32 v42, vcc, s0, v42
	v_addc_co_u32_e32 v43, vcc, v41, v43, vcc
	global_load_dword v44, v[42:43], off
	s_nop 0
	global_load_dword v42, v[3:4], off
	v_mov_b32_e32 v43, v2
	s_load_dwordx4 s[4:7], s[28:29], 0x0
	s_load_dwordx2 s[20:21], s[28:29], 0x10
	s_load_dword s26, s[28:29], 0x18
	s_add_u32 s18, s18, 4
	s_addc_u32 s19, s19, 0
	s_add_u32 s16, s16, 28
	s_addc_u32 s17, s17, 0
	v_add_u32_e32 v38, 0x70, v38
	v_add_u32_e32 v37, 16, v37
	s_cmpk_eq_i32 s16, 0xc4
	s_waitcnt vmcnt(0) lgkmcnt(0)
	v_fma_f32 v45, -s25, v44, v42
	v_add_u32_e32 v42, 8, v1
	v_lshlrev_b64 v[42:43], 2, v[42:43]
	v_fmac_f32_e32 v45, s4, v39
	v_add_co_u32_e32 v42, vcc, s0, v42
	v_addc_co_u32_e32 v43, vcc, v41, v43, vcc
	global_load_dword v42, v[42:43], off
	s_load_dword s27, s[28:29], 0xdc
	s_load_dwordx2 s[22:23], s[28:29], 0xd4
	s_load_dwordx4 s[8:11], s[28:29], 0xc4
	s_waitcnt vmcnt(0)
	v_fmac_f32_e32 v45, s3, v42
	s_waitcnt lgkmcnt(0)
	v_fma_f32 v43, -v40, s8, v45
	global_store_dword v[3:4], v43, off
	global_load_dword v43, v[5:6], off
	s_waitcnt vmcnt(0)
	v_fmac_f32_e32 v43, s25, v42
	v_fma_f32 v42, -v39, s8, v43
	v_fmac_f32_e32 v42, s3, v44
	v_fma_f32 v42, -v40, s4, v42
	global_store_dword v[5:6], v42, off
	v_add_u32_e32 v42, 16, v1
	v_mov_b32_e32 v43, v2
	v_lshlrev_b64 v[42:43], 2, v[42:43]
	v_add_co_u32_e32 v42, vcc, s0, v42
	v_addc_co_u32_e32 v43, vcc, v41, v43, vcc
	global_load_dword v44, v[42:43], off
	s_nop 0
	global_load_dword v42, v[7:8], off
	v_mov_b32_e32 v43, v2
	s_waitcnt vmcnt(0)
	v_fma_f32 v45, -s25, v44, v42
	v_add_u32_e32 v42, 24, v1
	v_lshlrev_b64 v[42:43], 2, v[42:43]
	v_fmac_f32_e32 v45, s5, v39
	v_add_co_u32_e32 v42, vcc, s0, v42
	v_addc_co_u32_e32 v43, vcc, v41, v43, vcc
	global_load_dword v42, v[42:43], off
	s_waitcnt vmcnt(0)
	v_fmac_f32_e32 v45, s3, v42
	v_fma_f32 v43, -v40, s9, v45
	global_store_dword v[7:8], v43, off
	global_load_dword v43, v[9:10], off
	s_waitcnt vmcnt(0)
	v_fmac_f32_e32 v43, s25, v42
	v_fma_f32 v42, -v39, s9, v43
	v_fmac_f32_e32 v42, s3, v44
	v_fma_f32 v42, -v40, s5, v42
	global_store_dword v[9:10], v42, off
	v_add_u32_e32 v42, 32, v1
	v_mov_b32_e32 v43, v2
	v_lshlrev_b64 v[42:43], 2, v[42:43]
	v_add_co_u32_e32 v42, vcc, s0, v42
	v_addc_co_u32_e32 v43, vcc, v41, v43, vcc
	global_load_dword v44, v[42:43], off
	s_nop 0
	global_load_dword v42, v[11:12], off
	v_mov_b32_e32 v43, v2
	s_waitcnt vmcnt(0)
	v_fma_f32 v45, -s25, v44, v42
	v_add_u32_e32 v42, 40, v1
	v_lshlrev_b64 v[42:43], 2, v[42:43]
	v_fmac_f32_e32 v45, s6, v39
	v_add_co_u32_e32 v42, vcc, s0, v42
	v_addc_co_u32_e32 v43, vcc, v41, v43, vcc
	global_load_dword v42, v[42:43], off
	s_waitcnt vmcnt(0)
	v_fmac_f32_e32 v45, s3, v42
	;; [unrolled: 28-line block ×5, first 2 shown]
	v_fma_f32 v43, -v40, s23, v45
	global_store_dword v[23:24], v43, off
	global_load_dword v43, v[25:26], off
	s_waitcnt vmcnt(0)
	v_fmac_f32_e32 v43, s25, v42
	v_fma_f32 v42, -v39, s23, v43
	v_fmac_f32_e32 v42, s3, v44
	v_fma_f32 v42, -v40, s21, v42
	global_store_dword v[25:26], v42, off
	v_add_u32_e32 v42, 0x60, v1
	v_mov_b32_e32 v43, v2
	v_lshlrev_b64 v[42:43], 2, v[42:43]
	v_add_u32_e32 v1, 0x68, v1
	v_add_co_u32_e32 v42, vcc, s0, v42
	v_lshlrev_b64 v[44:45], 2, v[1:2]
	v_addc_co_u32_e32 v43, vcc, v41, v43, vcc
	global_load_dword v42, v[42:43], off
	s_nop 0
	global_load_dword v43, v[27:28], off
	v_add_co_u32_e32 v44, vcc, s0, v44
	v_addc_co_u32_e32 v45, vcc, v41, v45, vcc
	global_load_dword v1, v[44:45], off
	s_waitcnt vmcnt(1)
	v_fma_f32 v43, -s25, v42, v43
	v_fmac_f32_e32 v43, s26, v39
	s_waitcnt vmcnt(0)
	v_fmac_f32_e32 v43, s3, v1
	v_fma_f32 v41, -v40, s27, v43
	global_store_dword v[27:28], v41, off
	global_load_dword v41, v[29:30], off
	s_waitcnt vmcnt(0)
	v_fmac_f32_e32 v41, s25, v1
	v_fma_f32 v1, -v39, s27, v41
	v_fmac_f32_e32 v1, s3, v42
	v_fma_f32 v1, -v40, s26, v1
	global_store_dword v[29:30], v1, off
	s_cbranch_scc0 .LBB15_2
; %bb.3:                                ;   in Loop: Header=BB15_1 Depth=1
	s_add_i32 s24, s24, 1
	s_add_u32 s14, s14, 28
	s_addc_u32 s15, s15, 0
	s_cmp_eq_u32 s24, 7
	v_add_u32_e32 v36, 0x70, v36
	s_cbranch_scc0 .LBB15_1
; %bb.4:
	s_endpgm
	.section	.rodata,"a",@progbits
	.p2align	6, 0x0
	.amdhsa_kernel _Z32comm_aosoa_constants_direct_permPK15HIP_vector_typeIfLj2EEPS0_S2_
		.amdhsa_group_segment_fixed_size 0
		.amdhsa_private_segment_fixed_size 0
		.amdhsa_kernarg_size 24
		.amdhsa_user_sgpr_count 6
		.amdhsa_user_sgpr_private_segment_buffer 1
		.amdhsa_user_sgpr_dispatch_ptr 0
		.amdhsa_user_sgpr_queue_ptr 0
		.amdhsa_user_sgpr_kernarg_segment_ptr 1
		.amdhsa_user_sgpr_dispatch_id 0
		.amdhsa_user_sgpr_flat_scratch_init 0
		.amdhsa_user_sgpr_private_segment_size 0
		.amdhsa_uses_dynamic_stack 0
		.amdhsa_system_sgpr_private_segment_wavefront_offset 0
		.amdhsa_system_sgpr_workgroup_id_x 1
		.amdhsa_system_sgpr_workgroup_id_y 1
		.amdhsa_system_sgpr_workgroup_id_z 0
		.amdhsa_system_sgpr_workgroup_info 0
		.amdhsa_system_vgpr_workitem_id 1
		.amdhsa_next_free_vgpr 46
		.amdhsa_next_free_sgpr 30
		.amdhsa_reserve_vcc 1
		.amdhsa_reserve_flat_scratch 0
		.amdhsa_float_round_mode_32 0
		.amdhsa_float_round_mode_16_64 0
		.amdhsa_float_denorm_mode_32 3
		.amdhsa_float_denorm_mode_16_64 3
		.amdhsa_dx10_clamp 1
		.amdhsa_ieee_mode 1
		.amdhsa_fp16_overflow 0
		.amdhsa_exception_fp_ieee_invalid_op 0
		.amdhsa_exception_fp_denorm_src 0
		.amdhsa_exception_fp_ieee_div_zero 0
		.amdhsa_exception_fp_ieee_overflow 0
		.amdhsa_exception_fp_ieee_underflow 0
		.amdhsa_exception_fp_ieee_inexact 0
		.amdhsa_exception_int_div_zero 0
	.end_amdhsa_kernel
	.text
.Lfunc_end15:
	.size	_Z32comm_aosoa_constants_direct_permPK15HIP_vector_typeIfLj2EEPS0_S2_, .Lfunc_end15-_Z32comm_aosoa_constants_direct_permPK15HIP_vector_typeIfLj2EEPS0_S2_
                                        ; -- End function
	.set _Z32comm_aosoa_constants_direct_permPK15HIP_vector_typeIfLj2EEPS0_S2_.num_vgpr, 46
	.set _Z32comm_aosoa_constants_direct_permPK15HIP_vector_typeIfLj2EEPS0_S2_.num_agpr, 0
	.set _Z32comm_aosoa_constants_direct_permPK15HIP_vector_typeIfLj2EEPS0_S2_.numbered_sgpr, 30
	.set _Z32comm_aosoa_constants_direct_permPK15HIP_vector_typeIfLj2EEPS0_S2_.num_named_barrier, 0
	.set _Z32comm_aosoa_constants_direct_permPK15HIP_vector_typeIfLj2EEPS0_S2_.private_seg_size, 0
	.set _Z32comm_aosoa_constants_direct_permPK15HIP_vector_typeIfLj2EEPS0_S2_.uses_vcc, 1
	.set _Z32comm_aosoa_constants_direct_permPK15HIP_vector_typeIfLj2EEPS0_S2_.uses_flat_scratch, 0
	.set _Z32comm_aosoa_constants_direct_permPK15HIP_vector_typeIfLj2EEPS0_S2_.has_dyn_sized_stack, 0
	.set _Z32comm_aosoa_constants_direct_permPK15HIP_vector_typeIfLj2EEPS0_S2_.has_recursion, 0
	.set _Z32comm_aosoa_constants_direct_permPK15HIP_vector_typeIfLj2EEPS0_S2_.has_indirect_call, 0
	.section	.AMDGPU.csdata,"",@progbits
; Kernel info:
; codeLenInByte = 1784
; TotalNumSgprs: 34
; NumVgprs: 46
; ScratchSize: 0
; MemoryBound: 0
; FloatMode: 240
; IeeeMode: 1
; LDSByteSize: 0 bytes/workgroup (compile time only)
; SGPRBlocks: 4
; VGPRBlocks: 11
; NumSGPRsForWavesPerEU: 34
; NumVGPRsForWavesPerEU: 46
; Occupancy: 5
; WaveLimiterHint : 1
; COMPUTE_PGM_RSRC2:SCRATCH_EN: 0
; COMPUTE_PGM_RSRC2:USER_SGPR: 6
; COMPUTE_PGM_RSRC2:TRAP_HANDLER: 0
; COMPUTE_PGM_RSRC2:TGID_X_EN: 1
; COMPUTE_PGM_RSRC2:TGID_Y_EN: 1
; COMPUTE_PGM_RSRC2:TGID_Z_EN: 0
; COMPUTE_PGM_RSRC2:TIDIG_COMP_CNT: 1
	.text
	.protected	_Z17comm_manual_aosoaPK15HIP_vector_typeIfLj2EEPS0_S2_i ; -- Begin function _Z17comm_manual_aosoaPK15HIP_vector_typeIfLj2EEPS0_S2_i
	.globl	_Z17comm_manual_aosoaPK15HIP_vector_typeIfLj2EEPS0_S2_i
	.p2align	8
	.type	_Z17comm_manual_aosoaPK15HIP_vector_typeIfLj2EEPS0_S2_i,@function
_Z17comm_manual_aosoaPK15HIP_vector_typeIfLj2EEPS0_S2_i: ; @_Z17comm_manual_aosoaPK15HIP_vector_typeIfLj2EEPS0_S2_i
; %bb.0:
	s_load_dword s8, s[4:5], 0x18
	s_waitcnt lgkmcnt(0)
	s_cmp_lt_i32 s8, 1
	s_cbranch_scc1 .LBB16_7
; %bb.1:
	s_load_dword s7, s[4:5], 0x2c
	s_load_dwordx4 s[0:3], s[4:5], 0x0
	s_load_dwordx2 s[10:11], s[4:5], 0x10
	s_mul_i32 s22, s8, s8
	s_mov_b32 s5, 0
	s_waitcnt lgkmcnt(0)
	s_and_b32 s4, s7, 0xffff
	s_mul_i32 s6, s6, s4
	v_add_u32_e32 v0, s6, v0
	v_mul_lo_u32 v1, s22, v0
	v_mul_lo_u32 v5, s8, v0
	s_mov_b32 s9, s5
	s_lshl_b64 s[6:7], s[8:9], 2
	v_lshlrev_b32_e32 v6, 1, v1
	s_lshl_b32 s9, s8, 1
	v_mov_b32_e32 v7, s1
	v_mov_b32_e32 v8, v6
	s_mov_b64 s[12:13], s[10:11]
	s_mov_b32 s1, s22
	s_mov_b32 s23, 0
.LBB16_2:                               ; =>This Loop Header: Depth=1
                                        ;     Child Loop BB16_3 Depth 2
                                        ;       Child Loop BB16_4 Depth 3
	v_add_u32_e32 v0, s23, v5
	v_mul_lo_u32 v9, v0, s8
	v_mov_b32_e32 v10, v6
	s_mov_b64 s[14:15], s[10:11]
	s_mov_b32 s24, s22
	s_mov_b32 s25, s5
.LBB16_3:                               ;   Parent Loop BB16_2 Depth=1
                                        ; =>  This Loop Header: Depth=2
                                        ;       Child Loop BB16_4 Depth 3
	v_mov_b32_e32 v15, 0
	s_mov_b32 s26, 0
	v_mov_b32_e32 v0, v8
	s_mov_b64 s[16:17], s[12:13]
	v_mov_b32_e32 v2, v10
	s_mov_b64 s[18:19], s[14:15]
	s_mov_b32 s20, s24
	v_mov_b32_e32 v16, 0
	v_mov_b32_e32 v17, 0
	;; [unrolled: 1-line block ×7, first 2 shown]
.LBB16_4:                               ;   Parent Loop BB16_2 Depth=1
                                        ;     Parent Loop BB16_3 Depth=2
                                        ; =>    This Inner Loop Header: Depth=3
	v_ashrrev_i32_e32 v3, 31, v2
	v_lshlrev_b64 v[3:4], 4, v[2:3]
	s_load_dword s27, s[16:17], 0x0
	s_load_dword s33, s[18:19], 0x0
	v_add_co_u32_e32 v23, vcc, s0, v3
	v_addc_co_u32_e32 v24, vcc, v7, v4, vcc
	global_load_dwordx4 v[19:22], v[23:24], off
	v_ashrrev_i32_e32 v1, 31, v0
	v_lshlrev_b64 v[3:4], 4, v[0:1]
	s_add_i32 s4, s1, s26
	v_add_co_u32_e32 v3, vcc, s0, v3
	v_addc_co_u32_e32 v4, vcc, v7, v4, vcc
	s_lshl_b64 s[28:29], s[4:5], 2
	s_add_u32 s28, s10, s28
	s_addc_u32 s29, s11, s29
	s_ashr_i32 s21, s20, 31
	s_lshl_b64 s[30:31], s[20:21], 2
	s_add_u32 s30, s10, s30
	s_addc_u32 s31, s11, s31
	s_load_dword s4, s[30:31], 0x0
	s_load_dword s21, s[28:29], 0x0
	s_add_i32 s26, s26, 1
	s_add_i32 s20, s20, s8
	s_add_u32 s18, s18, s6
	s_addc_u32 s19, s19, s7
	s_add_u32 s16, s16, 4
	s_addc_u32 s17, s17, 0
	v_add_u32_e32 v2, s9, v2
	v_add_u32_e32 v0, 2, v0
	s_cmp_eq_u32 s8, s26
	s_waitcnt vmcnt(0) lgkmcnt(0)
	v_fma_f32 v1, -v19, s27, v15
	v_fma_f32 v27, -v20, s27, v16
	;; [unrolled: 1-line block ×4, first 2 shown]
	global_load_dwordx4 v[15:18], v[23:24], off offset:16
	s_waitcnt vmcnt(0)
	v_fmac_f32_e32 v11, s27, v15
	global_load_dwordx4 v[23:26], v[3:4], off
	v_fmac_f32_e32 v12, s27, v16
	v_fmac_f32_e32 v13, s27, v17
	;; [unrolled: 1-line block ×3, first 2 shown]
	s_waitcnt vmcnt(0)
	v_fmac_f32_e32 v29, s33, v26
	v_fmac_f32_e32 v28, s33, v25
	;; [unrolled: 1-line block ×4, first 2 shown]
	v_fma_f32 v26, -v26, s4, v14
	v_fma_f32 v25, -v25, s4, v13
	;; [unrolled: 1-line block ×4, first 2 shown]
	global_load_dwordx4 v[11:14], v[3:4], off offset:16
	v_fmac_f32_e32 v1, s21, v15
	v_fmac_f32_e32 v27, s21, v16
	v_fmac_f32_e32 v28, s21, v17
	v_fmac_f32_e32 v29, s21, v18
	v_fmac_f32_e32 v23, s21, v19
	v_fmac_f32_e32 v24, s21, v20
	v_fmac_f32_e32 v25, s21, v21
	v_fmac_f32_e32 v26, s21, v22
	s_waitcnt vmcnt(0)
	v_fma_f32 v18, -v14, s4, v29
	v_fma_f32 v17, -v13, s4, v28
	v_fma_f32 v16, -v12, s4, v27
	v_fma_f32 v15, -v11, s4, v1
	v_fma_f32 v14, -s33, v14, v26
	v_fma_f32 v13, -s33, v13, v25
	v_fma_f32 v12, -s33, v12, v24
	v_fma_f32 v11, -s33, v11, v23
	s_cbranch_scc0 .LBB16_4
; %bb.5:                                ;   in Loop: Header=BB16_3 Depth=2
	v_add_lshl_u32 v0, s25, v9, 1
	v_ashrrev_i32_e32 v1, 31, v0
	v_lshlrev_b64 v[0:1], 4, v[0:1]
	v_mov_b32_e32 v2, s3
	v_add_co_u32_e32 v23, vcc, s2, v0
	v_addc_co_u32_e32 v24, vcc, v2, v1, vcc
	global_load_dwordx4 v[0:3], v[23:24], off
	global_load_dwordx4 v[19:22], v[23:24], off offset:16
	s_add_i32 s25, s25, 1
	s_add_i32 s24, s24, 1
	s_add_u32 s14, s14, 4
	s_addc_u32 s15, s15, 0
	s_cmp_eq_u32 s25, s8
	v_add_u32_e32 v10, 2, v10
	s_waitcnt vmcnt(1)
	v_add_f32_e32 v3, v14, v3
	v_add_f32_e32 v2, v13, v2
	;; [unrolled: 1-line block ×4, first 2 shown]
	s_waitcnt vmcnt(0)
	v_add_f32_e32 v14, v18, v22
	v_add_f32_e32 v13, v17, v21
	v_add_f32_e32 v12, v16, v20
	v_add_f32_e32 v11, v15, v19
	global_store_dwordx4 v[23:24], v[0:3], off
	global_store_dwordx4 v[23:24], v[11:14], off offset:16
	s_cbranch_scc0 .LBB16_3
; %bb.6:                                ;   in Loop: Header=BB16_2 Depth=1
	s_add_i32 s23, s23, 1
	s_add_i32 s1, s1, s8
	s_add_u32 s12, s12, s6
	s_addc_u32 s13, s13, s7
	s_cmp_eq_u32 s23, s8
	v_add_u32_e32 v8, s9, v8
	s_cbranch_scc0 .LBB16_2
.LBB16_7:
	s_endpgm
	.section	.rodata,"a",@progbits
	.p2align	6, 0x0
	.amdhsa_kernel _Z17comm_manual_aosoaPK15HIP_vector_typeIfLj2EEPS0_S2_i
		.amdhsa_group_segment_fixed_size 0
		.amdhsa_private_segment_fixed_size 0
		.amdhsa_kernarg_size 288
		.amdhsa_user_sgpr_count 6
		.amdhsa_user_sgpr_private_segment_buffer 1
		.amdhsa_user_sgpr_dispatch_ptr 0
		.amdhsa_user_sgpr_queue_ptr 0
		.amdhsa_user_sgpr_kernarg_segment_ptr 1
		.amdhsa_user_sgpr_dispatch_id 0
		.amdhsa_user_sgpr_flat_scratch_init 0
		.amdhsa_user_sgpr_private_segment_size 0
		.amdhsa_uses_dynamic_stack 0
		.amdhsa_system_sgpr_private_segment_wavefront_offset 0
		.amdhsa_system_sgpr_workgroup_id_x 1
		.amdhsa_system_sgpr_workgroup_id_y 0
		.amdhsa_system_sgpr_workgroup_id_z 0
		.amdhsa_system_sgpr_workgroup_info 0
		.amdhsa_system_vgpr_workitem_id 0
		.amdhsa_next_free_vgpr 30
		.amdhsa_next_free_sgpr 34
		.amdhsa_reserve_vcc 1
		.amdhsa_reserve_flat_scratch 0
		.amdhsa_float_round_mode_32 0
		.amdhsa_float_round_mode_16_64 0
		.amdhsa_float_denorm_mode_32 3
		.amdhsa_float_denorm_mode_16_64 3
		.amdhsa_dx10_clamp 1
		.amdhsa_ieee_mode 1
		.amdhsa_fp16_overflow 0
		.amdhsa_exception_fp_ieee_invalid_op 0
		.amdhsa_exception_fp_denorm_src 0
		.amdhsa_exception_fp_ieee_div_zero 0
		.amdhsa_exception_fp_ieee_overflow 0
		.amdhsa_exception_fp_ieee_underflow 0
		.amdhsa_exception_fp_ieee_inexact 0
		.amdhsa_exception_int_div_zero 0
	.end_amdhsa_kernel
	.text
.Lfunc_end16:
	.size	_Z17comm_manual_aosoaPK15HIP_vector_typeIfLj2EEPS0_S2_i, .Lfunc_end16-_Z17comm_manual_aosoaPK15HIP_vector_typeIfLj2EEPS0_S2_i
                                        ; -- End function
	.set _Z17comm_manual_aosoaPK15HIP_vector_typeIfLj2EEPS0_S2_i.num_vgpr, 30
	.set _Z17comm_manual_aosoaPK15HIP_vector_typeIfLj2EEPS0_S2_i.num_agpr, 0
	.set _Z17comm_manual_aosoaPK15HIP_vector_typeIfLj2EEPS0_S2_i.numbered_sgpr, 34
	.set _Z17comm_manual_aosoaPK15HIP_vector_typeIfLj2EEPS0_S2_i.num_named_barrier, 0
	.set _Z17comm_manual_aosoaPK15HIP_vector_typeIfLj2EEPS0_S2_i.private_seg_size, 0
	.set _Z17comm_manual_aosoaPK15HIP_vector_typeIfLj2EEPS0_S2_i.uses_vcc, 1
	.set _Z17comm_manual_aosoaPK15HIP_vector_typeIfLj2EEPS0_S2_i.uses_flat_scratch, 0
	.set _Z17comm_manual_aosoaPK15HIP_vector_typeIfLj2EEPS0_S2_i.has_dyn_sized_stack, 0
	.set _Z17comm_manual_aosoaPK15HIP_vector_typeIfLj2EEPS0_S2_i.has_recursion, 0
	.set _Z17comm_manual_aosoaPK15HIP_vector_typeIfLj2EEPS0_S2_i.has_indirect_call, 0
	.section	.AMDGPU.csdata,"",@progbits
; Kernel info:
; codeLenInByte = 756
; TotalNumSgprs: 38
; NumVgprs: 30
; ScratchSize: 0
; MemoryBound: 0
; FloatMode: 240
; IeeeMode: 1
; LDSByteSize: 0 bytes/workgroup (compile time only)
; SGPRBlocks: 4
; VGPRBlocks: 7
; NumSGPRsForWavesPerEU: 38
; NumVGPRsForWavesPerEU: 30
; Occupancy: 8
; WaveLimiterHint : 0
; COMPUTE_PGM_RSRC2:SCRATCH_EN: 0
; COMPUTE_PGM_RSRC2:USER_SGPR: 6
; COMPUTE_PGM_RSRC2:TRAP_HANDLER: 0
; COMPUTE_PGM_RSRC2:TGID_X_EN: 1
; COMPUTE_PGM_RSRC2:TGID_Y_EN: 0
; COMPUTE_PGM_RSRC2:TGID_Z_EN: 0
; COMPUTE_PGM_RSRC2:TIDIG_COMP_CNT: 0
	.text
	.protected	_Z27comm_manual_aosoa_constantsPK15HIP_vector_typeIfLj2EEPS0_S2_ ; -- Begin function _Z27comm_manual_aosoa_constantsPK15HIP_vector_typeIfLj2EEPS0_S2_
	.globl	_Z27comm_manual_aosoa_constantsPK15HIP_vector_typeIfLj2EEPS0_S2_
	.p2align	8
	.type	_Z27comm_manual_aosoa_constantsPK15HIP_vector_typeIfLj2EEPS0_S2_,@function
_Z27comm_manual_aosoa_constantsPK15HIP_vector_typeIfLj2EEPS0_S2_: ; @_Z27comm_manual_aosoa_constantsPK15HIP_vector_typeIfLj2EEPS0_S2_
; %bb.0:
	s_load_dword s7, s[4:5], 0x24
	s_load_dwordx4 s[0:3], s[4:5], 0x0
	s_movk_i32 s8, 0x62
	s_load_dwordx2 s[4:5], s[4:5], 0x10
	s_mov_b32 s22, 0
	s_waitcnt lgkmcnt(0)
	s_and_b32 s7, s7, 0xffff
	s_mul_i32 s6, s6, s7
	v_add_u32_e32 v0, s6, v0
	v_mul_lo_u32 v0, v0, s8
	v_mov_b32_e32 v3, s1
	s_mov_b64 s[6:7], 0
	v_mov_b32_e32 v7, s1
	v_ashrrev_i32_e32 v1, 31, v0
	v_lshlrev_b64 v[1:2], 4, v[0:1]
	s_mov_b32 s23, 0
	v_add_co_u32_e32 v1, vcc, s0, v1
	v_addc_co_u32_e32 v2, vcc, v3, v2, vcc
	s_branch .LBB17_2
.LBB17_1:                               ;   in Loop: Header=BB17_2 Depth=1
	s_add_i32 s23, s23, 1
	s_add_u32 s6, s6, 28
	s_addc_u32 s7, s7, 0
	s_add_i32 s22, s22, 14
	s_cmp_eq_u32 s23, 7
	s_cbranch_scc1 .LBB17_8
.LBB17_2:                               ; =>This Loop Header: Depth=1
                                        ;     Child Loop BB17_4 Depth 2
                                        ;       Child Loop BB17_6 Depth 3
	v_mov_b32_e32 v4, v2
	s_mul_i32 s24, s23, 7
	v_mov_b32_e32 v3, v1
	s_mov_b32 s25, 14
	s_mov_b64 s[8:9], 0
	s_mov_b32 s26, 0
	s_branch .LBB17_4
.LBB17_3:                               ;   in Loop: Header=BB17_4 Depth=2
	s_add_i32 s10, s26, s24
	v_lshl_add_u32 v5, s10, 1, v0
	v_ashrrev_i32_e32 v6, 31, v5
	v_lshlrev_b64 v[5:6], 4, v[5:6]
	v_mov_b32_e32 v16, s3
	v_add_co_u32_e32 v5, vcc, s2, v5
	v_addc_co_u32_e32 v6, vcc, v16, v6, vcc
	global_load_dwordx4 v[16:19], v[5:6], off
	global_load_dwordx4 v[20:23], v[5:6], off offset:16
	s_add_i32 s26, s26, 1
	s_add_u32 s8, s8, 4
	s_addc_u32 s9, s9, 0
	s_add_i32 s25, s25, 2
	v_add_co_u32_e32 v3, vcc, 32, v3
	s_cmp_eq_u32 s26, 7
	v_addc_co_u32_e32 v4, vcc, 0, v4, vcc
	s_waitcnt vmcnt(1)
	v_add_f32_e32 v15, v15, v19
	v_add_f32_e32 v14, v14, v18
	;; [unrolled: 1-line block ×4, first 2 shown]
	s_waitcnt vmcnt(0)
	v_add_f32_e32 v11, v11, v23
	v_add_f32_e32 v10, v10, v22
	;; [unrolled: 1-line block ×4, first 2 shown]
	global_store_dwordx4 v[5:6], v[12:15], off
	global_store_dwordx4 v[5:6], v[8:11], off offset:16
	s_cbranch_scc1 .LBB17_1
.LBB17_4:                               ;   Parent Loop BB17_2 Depth=1
                                        ; =>  This Loop Header: Depth=2
                                        ;       Child Loop BB17_6 Depth 3
	v_mov_b32_e32 v18, 0
	s_mov_b64 s[10:11], 0
	s_mov_b32 s27, s25
	s_mov_b64 s[12:13], s[8:9]
	s_mov_b32 s28, s22
	s_mov_b64 s[14:15], s[6:7]
	v_mov_b32_e32 v21, 0
	v_mov_b32_e32 v22, 0
	;; [unrolled: 1-line block ×7, first 2 shown]
	s_branch .LBB17_6
.LBB17_5:                               ;   in Loop: Header=BB17_6 Depth=3
	s_andn2_b64 vcc, exec, s[20:21]
	s_cbranch_vccz .LBB17_3
.LBB17_6:                               ;   Parent Loop BB17_2 Depth=1
                                        ;     Parent Loop BB17_4 Depth=2
                                        ; =>    This Inner Loop Header: Depth=3
	v_mov_b32_e32 v6, s11
	v_add_u32_e32 v5, s28, v0
	v_add_co_u32_e32 v12, vcc, s10, v3
	v_addc_co_u32_e32 v13, vcc, v4, v6, vcc
	v_ashrrev_i32_e32 v6, 31, v5
	v_lshlrev_b64 v[24:25], 4, v[5:6]
	global_load_dwordx4 v[8:11], v[12:13], off
	v_add_co_u32_e32 v28, vcc, s0, v24
	global_load_dwordx4 v[12:15], v[12:13], off offset:16
	v_addc_co_u32_e32 v29, vcc, v7, v25, vcc
	global_load_dwordx4 v[24:27], v[28:29], off
	s_nop 0
	global_load_dwordx4 v[28:31], v[28:29], off offset:16
	s_add_u32 s16, s4, s14
	s_addc_u32 s17, s5, s15
	s_add_u32 s18, s4, s12
	s_addc_u32 s19, s5, s13
	s_load_dword s20, s[16:17], 0x0
	s_load_dword s21, s[18:19], 0x0
	;; [unrolled: 1-line block ×4, first 2 shown]
	s_cmpk_eq_i32 s10, 0x540
	s_waitcnt vmcnt(3) lgkmcnt(0)
	v_fma_f32 v6, -v8, s20, v18
	v_fma_f32 v18, -v9, s20, v21
	;; [unrolled: 1-line block ×4, first 2 shown]
	s_waitcnt vmcnt(2)
	v_fmac_f32_e32 v16, s20, v12
	v_fmac_f32_e32 v17, s20, v13
	;; [unrolled: 1-line block ×4, first 2 shown]
	s_waitcnt vmcnt(1)
	v_fmac_f32_e32 v22, s21, v27
	v_fmac_f32_e32 v21, s21, v26
	;; [unrolled: 1-line block ×4, first 2 shown]
	v_fma_f32 v20, -v27, s29, v20
	v_fma_f32 v19, -v26, s29, v19
	;; [unrolled: 1-line block ×4, first 2 shown]
	v_fmac_f32_e32 v6, s30, v12
	v_fmac_f32_e32 v18, s30, v13
	;; [unrolled: 1-line block ×8, first 2 shown]
	s_waitcnt vmcnt(0)
	v_fma_f32 v11, -v31, s29, v22
	v_fma_f32 v10, -v30, s29, v21
	;; [unrolled: 1-line block ×8, first 2 shown]
	s_mov_b64 s[20:21], -1
                                        ; implicit-def: $vgpr20
                                        ; implicit-def: $vgpr19
                                        ; implicit-def: $vgpr17
                                        ; implicit-def: $vgpr16
                                        ; implicit-def: $vgpr23
                                        ; implicit-def: $vgpr22
                                        ; implicit-def: $vgpr21
                                        ; implicit-def: $vgpr18
	s_cbranch_scc1 .LBB17_5
; %bb.7:                                ;   in Loop: Header=BB17_6 Depth=3
	v_add_u32_e32 v16, s27, v0
	v_ashrrev_i32_e32 v17, 31, v16
	v_lshlrev_b64 v[16:17], 4, v[16:17]
	v_add_u32_e32 v5, 2, v5
	v_ashrrev_i32_e32 v6, 31, v5
	v_mov_b32_e32 v22, s1
	v_add_co_u32_e32 v20, vcc, s0, v16
	v_lshlrev_b64 v[5:6], 4, v[5:6]
	v_addc_co_u32_e32 v21, vcc, v22, v17, vcc
	v_add_co_u32_e32 v5, vcc, s0, v5
	global_load_dwordx4 v[16:19], v[20:21], off offset:16
	v_addc_co_u32_e32 v6, vcc, v22, v6, vcc
	global_load_dwordx4 v[20:23], v[20:21], off
	s_load_dword s20, s[16:17], 0x4
	s_load_dword s21, s[18:19], 0x1c
	;; [unrolled: 1-line block ×3, first 2 shown]
	global_load_dwordx4 v[24:27], v[5:6], off
	v_mov_b32_e32 v28, v12
	s_load_dword s16, s[16:17], 0xc8
	s_add_u32 s14, s14, 8
	s_addc_u32 s15, s15, 0
	s_add_u32 s10, s10, 0x1c0
	s_addc_u32 s11, s11, 0
	s_add_i32 s28, s28, 4
	s_add_u32 s12, s12, 56
	s_addc_u32 s13, s13, 0
	s_add_i32 s27, s27, 28
	s_waitcnt vmcnt(2) lgkmcnt(0)
	v_fmac_f32_e32 v28, s20, v16
	s_waitcnt vmcnt(1)
	v_fma_f32 v29, -v20, s20, v8
	v_fma_f32 v30, -v21, s20, v9
	s_waitcnt vmcnt(0)
	v_fmac_f32_e32 v29, s21, v24
	v_fma_f32 v28, -v24, s29, v28
	v_fma_f32 v24, s20, v17, v13
	v_fma_f32 v33, -v25, s29, v24
	v_fma_f32 v24, s20, v18, v14
	v_fma_f32 v31, -v22, s20, v10
	v_fma_f32 v32, -v23, s20, v11
	;; [unrolled: 1-line block ×3, first 2 shown]
	v_fma_f32 v24, s20, v19, v15
	v_fmac_f32_e32 v30, s21, v25
	v_fmac_f32_e32 v31, s21, v26
	;; [unrolled: 1-line block ×3, first 2 shown]
	v_fma_f32 v35, -v27, s29, v24
	global_load_dwordx4 v[24:27], v[5:6], off offset:16
	v_fmac_f32_e32 v32, s16, v19
	v_fmac_f32_e32 v31, s16, v18
	v_fmac_f32_e32 v30, s16, v17
	v_fmac_f32_e32 v29, s16, v16
	v_fmac_f32_e32 v35, s16, v23
	v_fmac_f32_e32 v34, s16, v22
	v_fmac_f32_e32 v33, s16, v21
	v_fmac_f32_e32 v28, s16, v20
	s_waitcnt vmcnt(0)
	v_fma_f32 v18, -v24, s29, v29
	v_fma_f32 v21, -v25, s29, v30
	;; [unrolled: 1-line block ×8, first 2 shown]
	s_mov_b64 s[20:21], 0
	s_branch .LBB17_5
.LBB17_8:
	s_endpgm
	.section	.rodata,"a",@progbits
	.p2align	6, 0x0
	.amdhsa_kernel _Z27comm_manual_aosoa_constantsPK15HIP_vector_typeIfLj2EEPS0_S2_
		.amdhsa_group_segment_fixed_size 0
		.amdhsa_private_segment_fixed_size 0
		.amdhsa_kernarg_size 280
		.amdhsa_user_sgpr_count 6
		.amdhsa_user_sgpr_private_segment_buffer 1
		.amdhsa_user_sgpr_dispatch_ptr 0
		.amdhsa_user_sgpr_queue_ptr 0
		.amdhsa_user_sgpr_kernarg_segment_ptr 1
		.amdhsa_user_sgpr_dispatch_id 0
		.amdhsa_user_sgpr_flat_scratch_init 0
		.amdhsa_user_sgpr_private_segment_size 0
		.amdhsa_uses_dynamic_stack 0
		.amdhsa_system_sgpr_private_segment_wavefront_offset 0
		.amdhsa_system_sgpr_workgroup_id_x 1
		.amdhsa_system_sgpr_workgroup_id_y 0
		.amdhsa_system_sgpr_workgroup_id_z 0
		.amdhsa_system_sgpr_workgroup_info 0
		.amdhsa_system_vgpr_workitem_id 0
		.amdhsa_next_free_vgpr 36
		.amdhsa_next_free_sgpr 31
		.amdhsa_reserve_vcc 1
		.amdhsa_reserve_flat_scratch 0
		.amdhsa_float_round_mode_32 0
		.amdhsa_float_round_mode_16_64 0
		.amdhsa_float_denorm_mode_32 3
		.amdhsa_float_denorm_mode_16_64 3
		.amdhsa_dx10_clamp 1
		.amdhsa_ieee_mode 1
		.amdhsa_fp16_overflow 0
		.amdhsa_exception_fp_ieee_invalid_op 0
		.amdhsa_exception_fp_denorm_src 0
		.amdhsa_exception_fp_ieee_div_zero 0
		.amdhsa_exception_fp_ieee_overflow 0
		.amdhsa_exception_fp_ieee_underflow 0
		.amdhsa_exception_fp_ieee_inexact 0
		.amdhsa_exception_int_div_zero 0
	.end_amdhsa_kernel
	.text
.Lfunc_end17:
	.size	_Z27comm_manual_aosoa_constantsPK15HIP_vector_typeIfLj2EEPS0_S2_, .Lfunc_end17-_Z27comm_manual_aosoa_constantsPK15HIP_vector_typeIfLj2EEPS0_S2_
                                        ; -- End function
	.set _Z27comm_manual_aosoa_constantsPK15HIP_vector_typeIfLj2EEPS0_S2_.num_vgpr, 36
	.set _Z27comm_manual_aosoa_constantsPK15HIP_vector_typeIfLj2EEPS0_S2_.num_agpr, 0
	.set _Z27comm_manual_aosoa_constantsPK15HIP_vector_typeIfLj2EEPS0_S2_.numbered_sgpr, 31
	.set _Z27comm_manual_aosoa_constantsPK15HIP_vector_typeIfLj2EEPS0_S2_.num_named_barrier, 0
	.set _Z27comm_manual_aosoa_constantsPK15HIP_vector_typeIfLj2EEPS0_S2_.private_seg_size, 0
	.set _Z27comm_manual_aosoa_constantsPK15HIP_vector_typeIfLj2EEPS0_S2_.uses_vcc, 1
	.set _Z27comm_manual_aosoa_constantsPK15HIP_vector_typeIfLj2EEPS0_S2_.uses_flat_scratch, 0
	.set _Z27comm_manual_aosoa_constantsPK15HIP_vector_typeIfLj2EEPS0_S2_.has_dyn_sized_stack, 0
	.set _Z27comm_manual_aosoa_constantsPK15HIP_vector_typeIfLj2EEPS0_S2_.has_recursion, 0
	.set _Z27comm_manual_aosoa_constantsPK15HIP_vector_typeIfLj2EEPS0_S2_.has_indirect_call, 0
	.section	.AMDGPU.csdata,"",@progbits
; Kernel info:
; codeLenInByte = 1084
; TotalNumSgprs: 35
; NumVgprs: 36
; ScratchSize: 0
; MemoryBound: 0
; FloatMode: 240
; IeeeMode: 1
; LDSByteSize: 0 bytes/workgroup (compile time only)
; SGPRBlocks: 4
; VGPRBlocks: 8
; NumSGPRsForWavesPerEU: 35
; NumVGPRsForWavesPerEU: 36
; Occupancy: 7
; WaveLimiterHint : 0
; COMPUTE_PGM_RSRC2:SCRATCH_EN: 0
; COMPUTE_PGM_RSRC2:USER_SGPR: 6
; COMPUTE_PGM_RSRC2:TRAP_HANDLER: 0
; COMPUTE_PGM_RSRC2:TGID_X_EN: 1
; COMPUTE_PGM_RSRC2:TGID_Y_EN: 0
; COMPUTE_PGM_RSRC2:TGID_Z_EN: 0
; COMPUTE_PGM_RSRC2:TIDIG_COMP_CNT: 0
	.text
	.protected	_Z32comm_manual_aosoa_constants_permPK15HIP_vector_typeIfLj2EEPS0_S2_ ; -- Begin function _Z32comm_manual_aosoa_constants_permPK15HIP_vector_typeIfLj2EEPS0_S2_
	.globl	_Z32comm_manual_aosoa_constants_permPK15HIP_vector_typeIfLj2EEPS0_S2_
	.p2align	8
	.type	_Z32comm_manual_aosoa_constants_permPK15HIP_vector_typeIfLj2EEPS0_S2_,@function
_Z32comm_manual_aosoa_constants_permPK15HIP_vector_typeIfLj2EEPS0_S2_: ; @_Z32comm_manual_aosoa_constants_permPK15HIP_vector_typeIfLj2EEPS0_S2_
; %bb.0:
	s_load_dword s7, s[4:5], 0x24
	s_load_dwordx4 s[0:3], s[4:5], 0x0
	s_movk_i32 s8, 0x62
	s_load_dwordx2 s[4:5], s[4:5], 0x10
	s_mov_b32 s17, 0
	s_waitcnt lgkmcnt(0)
	s_and_b32 s7, s7, 0xffff
	s_mul_i32 s6, s6, s7
	v_add_u32_e32 v0, s6, v0
	v_mul_lo_u32 v8, v0, s8
	v_mov_b32_e32 v2, s1
	s_add_u32 s16, s2, 16
	s_addc_u32 s6, s3, 0
	v_ashrrev_i32_e32 v9, 31, v8
	v_lshlrev_b64 v[0:1], 4, v[8:9]
	v_add_u32_e32 v24, 2, v8
	v_add_co_u32_e32 v0, vcc, s0, v0
	v_addc_co_u32_e32 v1, vcc, v2, v1, vcc
	v_add_co_u32_e32 v9, vcc, 16, v0
	v_addc_co_u32_e32 v10, vcc, 0, v1, vcc
	s_mov_b32 s7, 0
	v_mov_b32_e32 v25, s6
	v_mov_b32_e32 v26, s1
	;; [unrolled: 1-line block ×4, first 2 shown]
	s_branch .LBB18_2
.LBB18_1:                               ;   in Loop: Header=BB18_2 Depth=1
	s_add_i32 s17, s17, 1
	v_add_u32_e32 v27, 14, v27
	s_cmp_eq_u32 s17, 7
	v_add_u32_e32 v11, 14, v11
	s_cbranch_scc1 .LBB18_8
.LBB18_2:                               ; =>This Loop Header: Depth=1
                                        ;     Child Loop BB18_4 Depth 2
                                        ;       Child Loop BB18_6 Depth 3
	v_ashrrev_i32_e32 v12, 31, v11
	v_lshlrev_b64 v[0:1], 4, v[11:12]
	v_mov_b32_e32 v15, v10
	v_add_co_u32_e32 v12, vcc, s16, v0
	v_addc_co_u32_e32 v13, vcc, v25, v1, vcc
	s_mul_i32 s18, s17, 7
	v_mov_b32_e32 v14, v9
	v_mov_b32_e32 v28, v24
	s_mov_b64 s[8:9], s[4:5]
	s_mov_b32 s19, s7
	s_branch .LBB18_4
.LBB18_3:                               ;   in Loop: Header=BB18_4 Depth=2
	s_add_i32 s19, s19, 1
	s_add_u32 s8, s8, 28
	s_addc_u32 s9, s9, 0
	v_add_co_u32_e32 v14, vcc, 0xe0, v14
	v_add_u32_e32 v28, 14, v28
	s_cmp_eq_u32 s19, 7
	v_addc_co_u32_e32 v15, vcc, 0, v15, vcc
	s_cbranch_scc1 .LBB18_1
.LBB18_4:                               ;   Parent Loop BB18_2 Depth=1
                                        ; =>  This Loop Header: Depth=2
                                        ;       Child Loop BB18_6 Depth 3
	s_add_i32 s6, s19, s18
	v_lshl_add_u32 v0, s6, 1, v8
	v_ashrrev_i32_e32 v1, 31, v0
	v_lshlrev_b64 v[0:1], 4, v[0:1]
	s_lshl_b64 s[10:11], s[6:7], 2
	v_add_co_u32_e32 v16, vcc, s0, v0
	v_addc_co_u32_e32 v17, vcc, v26, v1, vcc
	global_load_dwordx4 v[0:3], v[16:17], off offset:16
	global_load_dwordx4 v[4:7], v[16:17], off
	s_add_u32 s10, s4, s10
	s_addc_u32 s11, s5, s11
	s_load_dword s6, s[10:11], 0x0
	s_load_dword s20, s[10:11], 0xc4
	v_mov_b32_e32 v17, v15
	v_mov_b32_e32 v19, v13
	s_mov_b64 s[10:11], 0
	s_waitcnt lgkmcnt(0)
	s_mov_b32 s21, s6
	s_mov_b32 s22, s6
	;; [unrolled: 1-line block ×6, first 2 shown]
	v_mov_b32_e32 v16, v14
	v_mov_b32_e32 v18, v12
	v_mov_b32_e32 v20, v28
	v_mov_b32_e32 v22, v27
	s_branch .LBB18_6
.LBB18_5:                               ;   in Loop: Header=BB18_6 Depth=3
	s_andn2_b64 vcc, exec, s[14:15]
	s_cbranch_vccz .LBB18_3
.LBB18_6:                               ;   Parent Loop BB18_2 Depth=1
                                        ;     Parent Loop BB18_4 Depth=2
                                        ; =>    This Inner Loop Header: Depth=3
	global_load_dwordx4 v[29:32], v[16:17], off offset:-16
	global_load_dwordx4 v[33:36], v[18:19], off
	global_load_dwordx4 v[37:40], v[18:19], off offset:-16
	global_load_dwordx4 v[41:44], v[16:17], off
	s_add_u32 s12, s8, s10
	s_addc_u32 s13, s9, s11
	s_load_dword s14, s[12:13], 0xc4
	s_load_dword s15, s[12:13], 0x0
	s_cmp_eq_u32 s10, 24
	s_waitcnt vmcnt(2)
	v_fma_f32 v21, -s6, v29, v33
	v_fma_f32 v23, -s21, v30, v34
	;; [unrolled: 1-line block ×4, first 2 shown]
	s_waitcnt vmcnt(0)
	v_fmac_f32_e32 v40, s23, v44
	v_fma_f32 v35, s6, v41, v37
	v_fma_f32 v36, s21, v42, v38
	;; [unrolled: 1-line block ×3, first 2 shown]
	s_waitcnt lgkmcnt(0)
	v_fma_f32 v38, -v7, s14, v40
	v_fmac_f32_e32 v34, s15, v7
	v_fmac_f32_e32 v33, s15, v6
	;; [unrolled: 1-line block ×4, first 2 shown]
	v_fma_f32 v37, -v6, s14, v37
	v_fma_f32 v39, -v5, s14, v36
	;; [unrolled: 1-line block ×3, first 2 shown]
	v_fmac_f32_e32 v21, s20, v41
	v_fmac_f32_e32 v23, s24, v42
	;; [unrolled: 1-line block ×8, first 2 shown]
	v_fma_f32 v32, -v3, s14, v34
	v_fma_f32 v31, -v2, s14, v33
	v_fma_f32 v30, -v1, s14, v23
	v_fma_f32 v29, -v0, s14, v21
	v_fma_f32 v36, -v3, s15, v38
	v_fma_f32 v35, -v2, s15, v37
	v_fma_f32 v34, -v1, s15, v39
	v_fma_f32 v33, -v0, s15, v40
	s_mov_b64 s[14:15], -1
	global_store_dwordx4 v[18:19], v[33:36], off offset:-16
	global_store_dwordx4 v[18:19], v[29:32], off
	s_cbranch_scc1 .LBB18_5
; %bb.7:                                ;   in Loop: Header=BB18_6 Depth=3
	v_ashrrev_i32_e32 v23, 31, v22
	v_lshlrev_b64 v[29:30], 4, v[22:23]
	v_mov_b32_e32 v21, s3
	v_add_co_u32_e32 v45, vcc, s2, v29
	v_addc_co_u32_e32 v46, vcc, v21, v30, vcc
	v_ashrrev_i32_e32 v21, 31, v20
	v_lshlrev_b64 v[29:30], 4, v[20:21]
	v_mov_b32_e32 v21, s1
	v_add_co_u32_e32 v41, vcc, s0, v29
	v_addc_co_u32_e32 v42, vcc, v21, v30, vcc
	global_load_dwordx4 v[29:32], v[41:42], off
	global_load_dwordx4 v[33:36], v[45:46], off offset:16
	global_load_dwordx4 v[37:40], v[45:46], off
	s_nop 0
	global_load_dwordx4 v[41:44], v[41:42], off offset:16
	s_load_dword s14, s[12:13], 0x4
	s_nop 0
	s_load_dword s12, s[12:13], 0xc8
	v_add_co_u32_e32 v18, vcc, 64, v18
	v_addc_co_u32_e32 v19, vcc, 0, v19, vcc
	s_add_u32 s10, s10, 8
	v_add_co_u32_e32 v16, vcc, 64, v16
	v_addc_co_u32_e32 v17, vcc, 0, v17, vcc
	s_addc_u32 s11, s11, 0
	v_add_u32_e32 v22, 4, v22
	v_add_u32_e32 v20, 4, v20
	s_waitcnt vmcnt(2)
	v_fma_f32 v21, -s6, v29, v33
	v_fma_f32 v23, -s21, v30, v34
	;; [unrolled: 1-line block ×4, first 2 shown]
	s_waitcnt vmcnt(0)
	v_fma_f32 v35, s6, v41, v37
	v_fma_f32 v36, s21, v42, v38
	;; [unrolled: 1-line block ×3, first 2 shown]
	v_fmac_f32_e32 v40, s23, v44
	s_waitcnt lgkmcnt(0)
	v_fmac_f32_e32 v34, s14, v7
	v_fmac_f32_e32 v33, s14, v6
	v_fma_f32 v38, -v7, s12, v40
	v_fma_f32 v37, -v6, s12, v37
	v_fma_f32 v39, -v5, s12, v36
	v_fma_f32 v40, -v4, s12, v35
	v_fmac_f32_e32 v23, s14, v5
	v_fmac_f32_e32 v21, s14, v4
	;; [unrolled: 1-line block ×10, first 2 shown]
	v_fma_f32 v32, -v3, s12, v34
	v_fma_f32 v31, -v2, s12, v33
	;; [unrolled: 1-line block ×6, first 2 shown]
	s_mov_b64 s[14:15], 0
	v_fma_f32 v30, -v1, s12, v23
	v_fma_f32 v29, -v0, s12, v21
	global_store_dwordx4 v[45:46], v[33:36], off
	global_store_dwordx4 v[45:46], v[29:32], off offset:16
	s_branch .LBB18_5
.LBB18_8:
	s_endpgm
	.section	.rodata,"a",@progbits
	.p2align	6, 0x0
	.amdhsa_kernel _Z32comm_manual_aosoa_constants_permPK15HIP_vector_typeIfLj2EEPS0_S2_
		.amdhsa_group_segment_fixed_size 0
		.amdhsa_private_segment_fixed_size 0
		.amdhsa_kernarg_size 280
		.amdhsa_user_sgpr_count 6
		.amdhsa_user_sgpr_private_segment_buffer 1
		.amdhsa_user_sgpr_dispatch_ptr 0
		.amdhsa_user_sgpr_queue_ptr 0
		.amdhsa_user_sgpr_kernarg_segment_ptr 1
		.amdhsa_user_sgpr_dispatch_id 0
		.amdhsa_user_sgpr_flat_scratch_init 0
		.amdhsa_user_sgpr_private_segment_size 0
		.amdhsa_uses_dynamic_stack 0
		.amdhsa_system_sgpr_private_segment_wavefront_offset 0
		.amdhsa_system_sgpr_workgroup_id_x 1
		.amdhsa_system_sgpr_workgroup_id_y 0
		.amdhsa_system_sgpr_workgroup_id_z 0
		.amdhsa_system_sgpr_workgroup_info 0
		.amdhsa_system_vgpr_workitem_id 0
		.amdhsa_next_free_vgpr 47
		.amdhsa_next_free_sgpr 27
		.amdhsa_reserve_vcc 1
		.amdhsa_reserve_flat_scratch 0
		.amdhsa_float_round_mode_32 0
		.amdhsa_float_round_mode_16_64 0
		.amdhsa_float_denorm_mode_32 3
		.amdhsa_float_denorm_mode_16_64 3
		.amdhsa_dx10_clamp 1
		.amdhsa_ieee_mode 1
		.amdhsa_fp16_overflow 0
		.amdhsa_exception_fp_ieee_invalid_op 0
		.amdhsa_exception_fp_denorm_src 0
		.amdhsa_exception_fp_ieee_div_zero 0
		.amdhsa_exception_fp_ieee_overflow 0
		.amdhsa_exception_fp_ieee_underflow 0
		.amdhsa_exception_fp_ieee_inexact 0
		.amdhsa_exception_int_div_zero 0
	.end_amdhsa_kernel
	.text
.Lfunc_end18:
	.size	_Z32comm_manual_aosoa_constants_permPK15HIP_vector_typeIfLj2EEPS0_S2_, .Lfunc_end18-_Z32comm_manual_aosoa_constants_permPK15HIP_vector_typeIfLj2EEPS0_S2_
                                        ; -- End function
	.set _Z32comm_manual_aosoa_constants_permPK15HIP_vector_typeIfLj2EEPS0_S2_.num_vgpr, 47
	.set _Z32comm_manual_aosoa_constants_permPK15HIP_vector_typeIfLj2EEPS0_S2_.num_agpr, 0
	.set _Z32comm_manual_aosoa_constants_permPK15HIP_vector_typeIfLj2EEPS0_S2_.numbered_sgpr, 27
	.set _Z32comm_manual_aosoa_constants_permPK15HIP_vector_typeIfLj2EEPS0_S2_.num_named_barrier, 0
	.set _Z32comm_manual_aosoa_constants_permPK15HIP_vector_typeIfLj2EEPS0_S2_.private_seg_size, 0
	.set _Z32comm_manual_aosoa_constants_permPK15HIP_vector_typeIfLj2EEPS0_S2_.uses_vcc, 1
	.set _Z32comm_manual_aosoa_constants_permPK15HIP_vector_typeIfLj2EEPS0_S2_.uses_flat_scratch, 0
	.set _Z32comm_manual_aosoa_constants_permPK15HIP_vector_typeIfLj2EEPS0_S2_.has_dyn_sized_stack, 0
	.set _Z32comm_manual_aosoa_constants_permPK15HIP_vector_typeIfLj2EEPS0_S2_.has_recursion, 0
	.set _Z32comm_manual_aosoa_constants_permPK15HIP_vector_typeIfLj2EEPS0_S2_.has_indirect_call, 0
	.section	.AMDGPU.csdata,"",@progbits
; Kernel info:
; codeLenInByte = 1056
; TotalNumSgprs: 31
; NumVgprs: 47
; ScratchSize: 0
; MemoryBound: 0
; FloatMode: 240
; IeeeMode: 1
; LDSByteSize: 0 bytes/workgroup (compile time only)
; SGPRBlocks: 3
; VGPRBlocks: 11
; NumSGPRsForWavesPerEU: 31
; NumVGPRsForWavesPerEU: 47
; Occupancy: 5
; WaveLimiterHint : 1
; COMPUTE_PGM_RSRC2:SCRATCH_EN: 0
; COMPUTE_PGM_RSRC2:USER_SGPR: 6
; COMPUTE_PGM_RSRC2:TRAP_HANDLER: 0
; COMPUTE_PGM_RSRC2:TGID_X_EN: 1
; COMPUTE_PGM_RSRC2:TGID_Y_EN: 0
; COMPUTE_PGM_RSRC2:TGID_Z_EN: 0
; COMPUTE_PGM_RSRC2:TIDIG_COMP_CNT: 0
	.text
	.protected	_Z41comm_manual_aosoa_constants_perm_prefetchPK15HIP_vector_typeIfLj2EEPS0_S2_ ; -- Begin function _Z41comm_manual_aosoa_constants_perm_prefetchPK15HIP_vector_typeIfLj2EEPS0_S2_
	.globl	_Z41comm_manual_aosoa_constants_perm_prefetchPK15HIP_vector_typeIfLj2EEPS0_S2_
	.p2align	8
	.type	_Z41comm_manual_aosoa_constants_perm_prefetchPK15HIP_vector_typeIfLj2EEPS0_S2_,@function
_Z41comm_manual_aosoa_constants_perm_prefetchPK15HIP_vector_typeIfLj2EEPS0_S2_: ; @_Z41comm_manual_aosoa_constants_perm_prefetchPK15HIP_vector_typeIfLj2EEPS0_S2_
; %bb.0:
	s_load_dword s7, s[4:5], 0x24
	s_load_dwordx4 s[0:3], s[4:5], 0x0
	s_movk_i32 s8, 0x62
	s_load_dwordx2 s[4:5], s[4:5], 0x10
	s_mov_b32 s22, 0
	s_waitcnt lgkmcnt(0)
	s_and_b32 s7, s7, 0xffff
	s_mul_i32 s6, s6, s7
	v_add_u32_e32 v0, s6, v0
	v_mul_lo_u32 v0, v0, s8
	v_mov_b32_e32 v3, s1
	s_mov_b64 s[6:7], 0
	v_mov_b32_e32 v7, s1
	v_ashrrev_i32_e32 v1, 31, v0
	v_lshlrev_b64 v[1:2], 4, v[0:1]
	s_mov_b32 s23, 0
	v_add_co_u32_e32 v1, vcc, s0, v1
	v_addc_co_u32_e32 v2, vcc, v3, v2, vcc
	s_branch .LBB19_2
.LBB19_1:                               ;   in Loop: Header=BB19_2 Depth=1
	s_add_i32 s23, s23, 1
	s_add_u32 s6, s6, 28
	s_addc_u32 s7, s7, 0
	s_add_i32 s22, s22, 14
	s_cmp_eq_u32 s23, 7
	s_cbranch_scc1 .LBB19_8
.LBB19_2:                               ; =>This Loop Header: Depth=1
                                        ;     Child Loop BB19_4 Depth 2
                                        ;       Child Loop BB19_6 Depth 3
	v_mov_b32_e32 v4, v2
	s_mul_i32 s24, s23, 7
	v_mov_b32_e32 v3, v1
	s_mov_b32 s25, 14
	s_mov_b64 s[8:9], 0
	s_mov_b32 s26, 0
	s_branch .LBB19_4
.LBB19_3:                               ;   in Loop: Header=BB19_4 Depth=2
	s_add_i32 s10, s26, s24
	v_lshl_add_u32 v5, s10, 1, v0
	v_ashrrev_i32_e32 v6, 31, v5
	v_lshlrev_b64 v[5:6], 4, v[5:6]
	v_mov_b32_e32 v16, s3
	v_add_co_u32_e32 v5, vcc, s2, v5
	v_addc_co_u32_e32 v6, vcc, v16, v6, vcc
	global_load_dwordx4 v[16:19], v[5:6], off
	global_load_dwordx4 v[20:23], v[5:6], off offset:16
	s_add_i32 s26, s26, 1
	s_add_u32 s8, s8, 4
	s_addc_u32 s9, s9, 0
	s_add_i32 s25, s25, 2
	v_add_co_u32_e32 v3, vcc, 32, v3
	s_cmp_eq_u32 s26, 7
	v_addc_co_u32_e32 v4, vcc, 0, v4, vcc
	s_waitcnt vmcnt(1)
	v_add_f32_e32 v15, v15, v19
	v_add_f32_e32 v14, v14, v18
	;; [unrolled: 1-line block ×4, first 2 shown]
	s_waitcnt vmcnt(0)
	v_add_f32_e32 v11, v11, v23
	v_add_f32_e32 v10, v10, v22
	;; [unrolled: 1-line block ×4, first 2 shown]
	global_store_dwordx4 v[5:6], v[12:15], off
	global_store_dwordx4 v[5:6], v[8:11], off offset:16
	s_cbranch_scc1 .LBB19_1
.LBB19_4:                               ;   Parent Loop BB19_2 Depth=1
                                        ; =>  This Loop Header: Depth=2
                                        ;       Child Loop BB19_6 Depth 3
	v_mov_b32_e32 v18, 0
	s_mov_b64 s[10:11], 0
	s_mov_b32 s27, s25
	s_mov_b64 s[12:13], s[8:9]
	s_mov_b32 s28, s22
	s_mov_b64 s[14:15], s[6:7]
	v_mov_b32_e32 v21, 0
	v_mov_b32_e32 v22, 0
	;; [unrolled: 1-line block ×7, first 2 shown]
	s_branch .LBB19_6
.LBB19_5:                               ;   in Loop: Header=BB19_6 Depth=3
	s_andn2_b64 vcc, exec, s[20:21]
	s_cbranch_vccz .LBB19_3
.LBB19_6:                               ;   Parent Loop BB19_2 Depth=1
                                        ;     Parent Loop BB19_4 Depth=2
                                        ; =>    This Inner Loop Header: Depth=3
	v_mov_b32_e32 v6, s11
	v_add_u32_e32 v5, s28, v0
	v_add_co_u32_e32 v12, vcc, s10, v3
	v_addc_co_u32_e32 v13, vcc, v4, v6, vcc
	v_ashrrev_i32_e32 v6, 31, v5
	v_lshlrev_b64 v[24:25], 4, v[5:6]
	global_load_dwordx4 v[8:11], v[12:13], off
	v_add_co_u32_e32 v28, vcc, s0, v24
	global_load_dwordx4 v[12:15], v[12:13], off offset:16
	v_addc_co_u32_e32 v29, vcc, v7, v25, vcc
	global_load_dwordx4 v[24:27], v[28:29], off
	s_nop 0
	global_load_dwordx4 v[28:31], v[28:29], off offset:16
	s_add_u32 s16, s4, s14
	s_addc_u32 s17, s5, s15
	s_add_u32 s18, s4, s12
	s_addc_u32 s19, s5, s13
	s_load_dword s20, s[16:17], 0x0
	s_load_dword s21, s[18:19], 0x0
	;; [unrolled: 1-line block ×4, first 2 shown]
	s_cmpk_eq_i32 s10, 0x540
	s_waitcnt vmcnt(3) lgkmcnt(0)
	v_fma_f32 v6, -v8, s20, v18
	v_fma_f32 v18, -v9, s20, v21
	;; [unrolled: 1-line block ×4, first 2 shown]
	s_waitcnt vmcnt(2)
	v_fmac_f32_e32 v16, s20, v12
	v_fmac_f32_e32 v17, s20, v13
	;; [unrolled: 1-line block ×4, first 2 shown]
	s_waitcnt vmcnt(1)
	v_fmac_f32_e32 v22, s21, v27
	v_fmac_f32_e32 v21, s21, v26
	;; [unrolled: 1-line block ×4, first 2 shown]
	v_fma_f32 v20, -v27, s29, v20
	v_fma_f32 v19, -v26, s29, v19
	;; [unrolled: 1-line block ×4, first 2 shown]
	v_fmac_f32_e32 v6, s30, v12
	v_fmac_f32_e32 v18, s30, v13
	;; [unrolled: 1-line block ×8, first 2 shown]
	s_waitcnt vmcnt(0)
	v_fma_f32 v11, -v31, s29, v22
	v_fma_f32 v10, -v30, s29, v21
	;; [unrolled: 1-line block ×8, first 2 shown]
	s_mov_b64 s[20:21], -1
                                        ; implicit-def: $vgpr20
                                        ; implicit-def: $vgpr19
                                        ; implicit-def: $vgpr17
                                        ; implicit-def: $vgpr16
                                        ; implicit-def: $vgpr23
                                        ; implicit-def: $vgpr22
                                        ; implicit-def: $vgpr21
                                        ; implicit-def: $vgpr18
	s_cbranch_scc1 .LBB19_5
; %bb.7:                                ;   in Loop: Header=BB19_6 Depth=3
	v_add_u32_e32 v16, s27, v0
	v_ashrrev_i32_e32 v17, 31, v16
	v_lshlrev_b64 v[16:17], 4, v[16:17]
	v_add_u32_e32 v5, 2, v5
	v_ashrrev_i32_e32 v6, 31, v5
	v_mov_b32_e32 v22, s1
	v_add_co_u32_e32 v20, vcc, s0, v16
	v_lshlrev_b64 v[5:6], 4, v[5:6]
	v_addc_co_u32_e32 v21, vcc, v22, v17, vcc
	v_add_co_u32_e32 v5, vcc, s0, v5
	global_load_dwordx4 v[16:19], v[20:21], off offset:16
	v_addc_co_u32_e32 v6, vcc, v22, v6, vcc
	global_load_dwordx4 v[20:23], v[20:21], off
	s_load_dword s20, s[16:17], 0x4
	s_load_dword s21, s[18:19], 0x1c
	;; [unrolled: 1-line block ×3, first 2 shown]
	global_load_dwordx4 v[24:27], v[5:6], off
	v_mov_b32_e32 v28, v12
	s_load_dword s16, s[16:17], 0xc8
	s_add_u32 s14, s14, 8
	s_addc_u32 s15, s15, 0
	s_add_u32 s10, s10, 0x1c0
	s_addc_u32 s11, s11, 0
	s_add_i32 s28, s28, 4
	s_add_u32 s12, s12, 56
	s_addc_u32 s13, s13, 0
	s_add_i32 s27, s27, 28
	s_waitcnt vmcnt(2) lgkmcnt(0)
	v_fmac_f32_e32 v28, s20, v16
	s_waitcnt vmcnt(1)
	v_fma_f32 v29, -v20, s20, v8
	v_fma_f32 v30, -v21, s20, v9
	s_waitcnt vmcnt(0)
	v_fmac_f32_e32 v29, s21, v24
	v_fma_f32 v28, -v24, s29, v28
	v_fma_f32 v24, s20, v17, v13
	v_fma_f32 v33, -v25, s29, v24
	v_fma_f32 v24, s20, v18, v14
	v_fma_f32 v31, -v22, s20, v10
	v_fma_f32 v32, -v23, s20, v11
	;; [unrolled: 1-line block ×3, first 2 shown]
	v_fma_f32 v24, s20, v19, v15
	v_fmac_f32_e32 v30, s21, v25
	v_fmac_f32_e32 v31, s21, v26
	;; [unrolled: 1-line block ×3, first 2 shown]
	v_fma_f32 v35, -v27, s29, v24
	global_load_dwordx4 v[24:27], v[5:6], off offset:16
	v_fmac_f32_e32 v32, s16, v19
	v_fmac_f32_e32 v31, s16, v18
	;; [unrolled: 1-line block ×8, first 2 shown]
	s_waitcnt vmcnt(0)
	v_fma_f32 v18, -v24, s29, v29
	v_fma_f32 v21, -v25, s29, v30
	;; [unrolled: 1-line block ×8, first 2 shown]
	s_mov_b64 s[20:21], 0
	s_branch .LBB19_5
.LBB19_8:
	s_endpgm
	.section	.rodata,"a",@progbits
	.p2align	6, 0x0
	.amdhsa_kernel _Z41comm_manual_aosoa_constants_perm_prefetchPK15HIP_vector_typeIfLj2EEPS0_S2_
		.amdhsa_group_segment_fixed_size 0
		.amdhsa_private_segment_fixed_size 0
		.amdhsa_kernarg_size 280
		.amdhsa_user_sgpr_count 6
		.amdhsa_user_sgpr_private_segment_buffer 1
		.amdhsa_user_sgpr_dispatch_ptr 0
		.amdhsa_user_sgpr_queue_ptr 0
		.amdhsa_user_sgpr_kernarg_segment_ptr 1
		.amdhsa_user_sgpr_dispatch_id 0
		.amdhsa_user_sgpr_flat_scratch_init 0
		.amdhsa_user_sgpr_private_segment_size 0
		.amdhsa_uses_dynamic_stack 0
		.amdhsa_system_sgpr_private_segment_wavefront_offset 0
		.amdhsa_system_sgpr_workgroup_id_x 1
		.amdhsa_system_sgpr_workgroup_id_y 0
		.amdhsa_system_sgpr_workgroup_id_z 0
		.amdhsa_system_sgpr_workgroup_info 0
		.amdhsa_system_vgpr_workitem_id 0
		.amdhsa_next_free_vgpr 36
		.amdhsa_next_free_sgpr 31
		.amdhsa_reserve_vcc 1
		.amdhsa_reserve_flat_scratch 0
		.amdhsa_float_round_mode_32 0
		.amdhsa_float_round_mode_16_64 0
		.amdhsa_float_denorm_mode_32 3
		.amdhsa_float_denorm_mode_16_64 3
		.amdhsa_dx10_clamp 1
		.amdhsa_ieee_mode 1
		.amdhsa_fp16_overflow 0
		.amdhsa_exception_fp_ieee_invalid_op 0
		.amdhsa_exception_fp_denorm_src 0
		.amdhsa_exception_fp_ieee_div_zero 0
		.amdhsa_exception_fp_ieee_overflow 0
		.amdhsa_exception_fp_ieee_underflow 0
		.amdhsa_exception_fp_ieee_inexact 0
		.amdhsa_exception_int_div_zero 0
	.end_amdhsa_kernel
	.text
.Lfunc_end19:
	.size	_Z41comm_manual_aosoa_constants_perm_prefetchPK15HIP_vector_typeIfLj2EEPS0_S2_, .Lfunc_end19-_Z41comm_manual_aosoa_constants_perm_prefetchPK15HIP_vector_typeIfLj2EEPS0_S2_
                                        ; -- End function
	.set _Z41comm_manual_aosoa_constants_perm_prefetchPK15HIP_vector_typeIfLj2EEPS0_S2_.num_vgpr, 36
	.set _Z41comm_manual_aosoa_constants_perm_prefetchPK15HIP_vector_typeIfLj2EEPS0_S2_.num_agpr, 0
	.set _Z41comm_manual_aosoa_constants_perm_prefetchPK15HIP_vector_typeIfLj2EEPS0_S2_.numbered_sgpr, 31
	.set _Z41comm_manual_aosoa_constants_perm_prefetchPK15HIP_vector_typeIfLj2EEPS0_S2_.num_named_barrier, 0
	.set _Z41comm_manual_aosoa_constants_perm_prefetchPK15HIP_vector_typeIfLj2EEPS0_S2_.private_seg_size, 0
	.set _Z41comm_manual_aosoa_constants_perm_prefetchPK15HIP_vector_typeIfLj2EEPS0_S2_.uses_vcc, 1
	.set _Z41comm_manual_aosoa_constants_perm_prefetchPK15HIP_vector_typeIfLj2EEPS0_S2_.uses_flat_scratch, 0
	.set _Z41comm_manual_aosoa_constants_perm_prefetchPK15HIP_vector_typeIfLj2EEPS0_S2_.has_dyn_sized_stack, 0
	.set _Z41comm_manual_aosoa_constants_perm_prefetchPK15HIP_vector_typeIfLj2EEPS0_S2_.has_recursion, 0
	.set _Z41comm_manual_aosoa_constants_perm_prefetchPK15HIP_vector_typeIfLj2EEPS0_S2_.has_indirect_call, 0
	.section	.AMDGPU.csdata,"",@progbits
; Kernel info:
; codeLenInByte = 1084
; TotalNumSgprs: 35
; NumVgprs: 36
; ScratchSize: 0
; MemoryBound: 0
; FloatMode: 240
; IeeeMode: 1
; LDSByteSize: 0 bytes/workgroup (compile time only)
; SGPRBlocks: 4
; VGPRBlocks: 8
; NumSGPRsForWavesPerEU: 35
; NumVGPRsForWavesPerEU: 36
; Occupancy: 7
; WaveLimiterHint : 0
; COMPUTE_PGM_RSRC2:SCRATCH_EN: 0
; COMPUTE_PGM_RSRC2:USER_SGPR: 6
; COMPUTE_PGM_RSRC2:TRAP_HANDLER: 0
; COMPUTE_PGM_RSRC2:TGID_X_EN: 1
; COMPUTE_PGM_RSRC2:TGID_Y_EN: 0
; COMPUTE_PGM_RSRC2:TGID_Z_EN: 0
; COMPUTE_PGM_RSRC2:TIDIG_COMP_CNT: 0
	.text
	.protected	_Z24comm_manual_aosoa_directPK15HIP_vector_typeIfLj2EEPS0_S2_i ; -- Begin function _Z24comm_manual_aosoa_directPK15HIP_vector_typeIfLj2EEPS0_S2_i
	.globl	_Z24comm_manual_aosoa_directPK15HIP_vector_typeIfLj2EEPS0_S2_i
	.p2align	8
	.type	_Z24comm_manual_aosoa_directPK15HIP_vector_typeIfLj2EEPS0_S2_i,@function
_Z24comm_manual_aosoa_directPK15HIP_vector_typeIfLj2EEPS0_S2_i: ; @_Z24comm_manual_aosoa_directPK15HIP_vector_typeIfLj2EEPS0_S2_i
; %bb.0:
	s_load_dword s8, s[4:5], 0x18
	s_waitcnt lgkmcnt(0)
	s_cmp_lt_i32 s8, 1
	s_cbranch_scc1 .LBB20_7
; %bb.1:
	s_load_dword s7, s[4:5], 0x2c
	s_load_dwordx4 s[0:3], s[4:5], 0x0
	s_load_dwordx2 s[10:11], s[4:5], 0x10
	s_mul_i32 s22, s8, s8
	s_mov_b32 s5, 0
	s_waitcnt lgkmcnt(0)
	s_and_b32 s4, s7, 0xffff
	s_mul_i32 s6, s6, s4
	v_add_u32_e32 v0, s6, v0
	v_mul_lo_u32 v1, s8, v0
	v_mul_lo_u32 v0, s22, v0
	s_mov_b32 s9, s5
	s_lshl_b64 s[6:7], s[8:9], 2
	v_mul_lo_u32 v18, v1, s8
	v_lshlrev_b32_e32 v19, 1, v0
	s_lshl_b32 s9, s8, 1
	v_mov_b32_e32 v20, s3
	v_mov_b32_e32 v21, s1
	;; [unrolled: 1-line block ×3, first 2 shown]
	s_mov_b64 s[12:13], s[10:11]
	s_mov_b32 s1, s22
	s_mov_b32 s3, 0
.LBB20_2:                               ; =>This Loop Header: Depth=1
                                        ;     Child Loop BB20_3 Depth 2
                                        ;       Child Loop BB20_4 Depth 3
	s_mul_i32 s4, s3, s8
	v_add_u32_e32 v23, s4, v18
	v_mov_b32_e32 v24, v19
	s_mov_b64 s[14:15], s[10:11]
	s_mov_b32 s23, s22
	s_mov_b32 s24, s5
.LBB20_3:                               ;   Parent Loop BB20_2 Depth=1
                                        ; =>  This Loop Header: Depth=2
                                        ;       Child Loop BB20_4 Depth 3
	v_add_lshl_u32 v0, v23, s24, 1
	v_ashrrev_i32_e32 v1, 31, v0
	v_lshlrev_b64 v[0:1], 4, v[0:1]
	s_mov_b32 s25, 0
	v_add_co_u32_e32 v12, vcc, s2, v0
	v_addc_co_u32_e32 v13, vcc, v20, v1, vcc
	global_load_dwordx4 v[4:7], v[12:13], off offset:16
	global_load_dwordx4 v[0:3], v[12:13], off
	v_mov_b32_e32 v14, v22
	s_mov_b64 s[16:17], s[12:13]
	v_mov_b32_e32 v16, v24
	s_mov_b64 s[18:19], s[14:15]
	s_mov_b32 s20, s23
.LBB20_4:                               ;   Parent Loop BB20_2 Depth=1
                                        ;     Parent Loop BB20_3 Depth=2
                                        ; =>    This Inner Loop Header: Depth=3
	v_ashrrev_i32_e32 v17, 31, v16
	v_lshlrev_b64 v[8:9], 4, v[16:17]
	v_ashrrev_i32_e32 v15, 31, v14
	v_lshlrev_b64 v[10:11], 4, v[14:15]
	v_add_co_u32_e32 v29, vcc, s0, v8
	v_addc_co_u32_e32 v30, vcc, v21, v9, vcc
	v_add_co_u32_e32 v33, vcc, s0, v10
	v_addc_co_u32_e32 v34, vcc, v21, v11, vcc
	global_load_dwordx4 v[8:11], v[29:30], off
	global_load_dwordx4 v[25:28], v[29:30], off offset:16
                                        ; kill: killed $vgpr29 killed $vgpr30
	s_nop 0
	global_load_dwordx4 v[29:32], v[33:34], off
	s_nop 0
	global_load_dwordx4 v[33:36], v[33:34], off offset:16
	s_add_i32 s4, s1, s25
	s_lshl_b64 s[26:27], s[4:5], 2
	s_add_u32 s26, s10, s26
	s_addc_u32 s27, s11, s27
	s_ashr_i32 s21, s20, 31
	s_lshl_b64 s[28:29], s[20:21], 2
	s_load_dword s30, s[16:17], 0x0
	s_add_u32 s28, s10, s28
	s_load_dword s31, s[18:19], 0x0
	s_addc_u32 s29, s11, s29
	s_load_dword s4, s[28:29], 0x0
	s_load_dword s21, s[26:27], 0x0
	s_add_i32 s25, s25, 1
	s_add_i32 s20, s20, s8
	s_add_u32 s18, s18, s6
	s_addc_u32 s19, s19, s7
	s_add_u32 s16, s16, 4
	s_addc_u32 s17, s17, 0
	v_add_u32_e32 v16, s9, v16
	v_add_u32_e32 v14, 2, v14
	s_cmp_eq_u32 s8, s25
	s_waitcnt vmcnt(3) lgkmcnt(0)
	v_fma_f32 v4, -v8, s30, v4
	v_fma_f32 v5, -v9, s30, v5
	;; [unrolled: 1-line block ×4, first 2 shown]
	s_waitcnt vmcnt(2)
	v_fmac_f32_e32 v3, s30, v28
	v_fma_f32 v0, s30, v25, v0
	v_fma_f32 v1, s30, v26, v1
	v_fma_f32 v2, s30, v27, v2
	s_waitcnt vmcnt(1)
	v_fma_f32 v3, -v32, s4, v3
	v_fmac_f32_e32 v7, s31, v32
	v_fmac_f32_e32 v6, s31, v31
	;; [unrolled: 1-line block ×4, first 2 shown]
	v_fma_f32 v2, -v31, s4, v2
	v_fma_f32 v1, -v30, s4, v1
	;; [unrolled: 1-line block ×3, first 2 shown]
	v_fmac_f32_e32 v4, s21, v25
	v_fmac_f32_e32 v5, s21, v26
	;; [unrolled: 1-line block ×8, first 2 shown]
	s_waitcnt vmcnt(0)
	v_fma_f32 v7, -v36, s4, v7
	v_fma_f32 v6, -v35, s4, v6
	;; [unrolled: 1-line block ×8, first 2 shown]
	s_cbranch_scc0 .LBB20_4
; %bb.5:                                ;   in Loop: Header=BB20_3 Depth=2
	s_add_i32 s24, s24, 1
	s_add_i32 s23, s23, 1
	s_add_u32 s14, s14, 4
	s_addc_u32 s15, s15, 0
	s_cmp_eq_u32 s24, s8
	v_add_u32_e32 v24, 2, v24
	global_store_dwordx4 v[12:13], v[4:7], off offset:16
	global_store_dwordx4 v[12:13], v[0:3], off
	s_cbranch_scc0 .LBB20_3
; %bb.6:                                ;   in Loop: Header=BB20_2 Depth=1
	s_add_i32 s3, s3, 1
	s_add_i32 s1, s1, s8
	s_add_u32 s12, s12, s6
	s_addc_u32 s13, s13, s7
	s_cmp_eq_u32 s3, s8
	v_add_u32_e32 v22, s9, v22
	s_cbranch_scc0 .LBB20_2
.LBB20_7:
	s_endpgm
	.section	.rodata,"a",@progbits
	.p2align	6, 0x0
	.amdhsa_kernel _Z24comm_manual_aosoa_directPK15HIP_vector_typeIfLj2EEPS0_S2_i
		.amdhsa_group_segment_fixed_size 0
		.amdhsa_private_segment_fixed_size 0
		.amdhsa_kernarg_size 288
		.amdhsa_user_sgpr_count 6
		.amdhsa_user_sgpr_private_segment_buffer 1
		.amdhsa_user_sgpr_dispatch_ptr 0
		.amdhsa_user_sgpr_queue_ptr 0
		.amdhsa_user_sgpr_kernarg_segment_ptr 1
		.amdhsa_user_sgpr_dispatch_id 0
		.amdhsa_user_sgpr_flat_scratch_init 0
		.amdhsa_user_sgpr_private_segment_size 0
		.amdhsa_uses_dynamic_stack 0
		.amdhsa_system_sgpr_private_segment_wavefront_offset 0
		.amdhsa_system_sgpr_workgroup_id_x 1
		.amdhsa_system_sgpr_workgroup_id_y 0
		.amdhsa_system_sgpr_workgroup_id_z 0
		.amdhsa_system_sgpr_workgroup_info 0
		.amdhsa_system_vgpr_workitem_id 0
		.amdhsa_next_free_vgpr 37
		.amdhsa_next_free_sgpr 32
		.amdhsa_reserve_vcc 1
		.amdhsa_reserve_flat_scratch 0
		.amdhsa_float_round_mode_32 0
		.amdhsa_float_round_mode_16_64 0
		.amdhsa_float_denorm_mode_32 3
		.amdhsa_float_denorm_mode_16_64 3
		.amdhsa_dx10_clamp 1
		.amdhsa_ieee_mode 1
		.amdhsa_fp16_overflow 0
		.amdhsa_exception_fp_ieee_invalid_op 0
		.amdhsa_exception_fp_denorm_src 0
		.amdhsa_exception_fp_ieee_div_zero 0
		.amdhsa_exception_fp_ieee_overflow 0
		.amdhsa_exception_fp_ieee_underflow 0
		.amdhsa_exception_fp_ieee_inexact 0
		.amdhsa_exception_int_div_zero 0
	.end_amdhsa_kernel
	.text
.Lfunc_end20:
	.size	_Z24comm_manual_aosoa_directPK15HIP_vector_typeIfLj2EEPS0_S2_i, .Lfunc_end20-_Z24comm_manual_aosoa_directPK15HIP_vector_typeIfLj2EEPS0_S2_i
                                        ; -- End function
	.set _Z24comm_manual_aosoa_directPK15HIP_vector_typeIfLj2EEPS0_S2_i.num_vgpr, 37
	.set _Z24comm_manual_aosoa_directPK15HIP_vector_typeIfLj2EEPS0_S2_i.num_agpr, 0
	.set _Z24comm_manual_aosoa_directPK15HIP_vector_typeIfLj2EEPS0_S2_i.numbered_sgpr, 32
	.set _Z24comm_manual_aosoa_directPK15HIP_vector_typeIfLj2EEPS0_S2_i.num_named_barrier, 0
	.set _Z24comm_manual_aosoa_directPK15HIP_vector_typeIfLj2EEPS0_S2_i.private_seg_size, 0
	.set _Z24comm_manual_aosoa_directPK15HIP_vector_typeIfLj2EEPS0_S2_i.uses_vcc, 1
	.set _Z24comm_manual_aosoa_directPK15HIP_vector_typeIfLj2EEPS0_S2_i.uses_flat_scratch, 0
	.set _Z24comm_manual_aosoa_directPK15HIP_vector_typeIfLj2EEPS0_S2_i.has_dyn_sized_stack, 0
	.set _Z24comm_manual_aosoa_directPK15HIP_vector_typeIfLj2EEPS0_S2_i.has_recursion, 0
	.set _Z24comm_manual_aosoa_directPK15HIP_vector_typeIfLj2EEPS0_S2_i.has_indirect_call, 0
	.section	.AMDGPU.csdata,"",@progbits
; Kernel info:
; codeLenInByte = 708
; TotalNumSgprs: 36
; NumVgprs: 37
; ScratchSize: 0
; MemoryBound: 1
; FloatMode: 240
; IeeeMode: 1
; LDSByteSize: 0 bytes/workgroup (compile time only)
; SGPRBlocks: 4
; VGPRBlocks: 9
; NumSGPRsForWavesPerEU: 36
; NumVGPRsForWavesPerEU: 37
; Occupancy: 6
; WaveLimiterHint : 0
; COMPUTE_PGM_RSRC2:SCRATCH_EN: 0
; COMPUTE_PGM_RSRC2:USER_SGPR: 6
; COMPUTE_PGM_RSRC2:TRAP_HANDLER: 0
; COMPUTE_PGM_RSRC2:TGID_X_EN: 1
; COMPUTE_PGM_RSRC2:TGID_Y_EN: 0
; COMPUTE_PGM_RSRC2:TGID_Z_EN: 0
; COMPUTE_PGM_RSRC2:TIDIG_COMP_CNT: 0
	.text
	.protected	_Z34comm_manual_aosoa_constants_directPK15HIP_vector_typeIfLj2EEPS0_S2_ ; -- Begin function _Z34comm_manual_aosoa_constants_directPK15HIP_vector_typeIfLj2EEPS0_S2_
	.globl	_Z34comm_manual_aosoa_constants_directPK15HIP_vector_typeIfLj2EEPS0_S2_
	.p2align	8
	.type	_Z34comm_manual_aosoa_constants_directPK15HIP_vector_typeIfLj2EEPS0_S2_,@function
_Z34comm_manual_aosoa_constants_directPK15HIP_vector_typeIfLj2EEPS0_S2_: ; @_Z34comm_manual_aosoa_constants_directPK15HIP_vector_typeIfLj2EEPS0_S2_
; %bb.0:
	s_load_dword s7, s[4:5], 0x24
	s_load_dwordx4 s[0:3], s[4:5], 0x0
	s_movk_i32 s8, 0x62
	s_load_dwordx2 s[4:5], s[4:5], 0x10
	s_mov_b32 s19, 0
	s_waitcnt lgkmcnt(0)
	s_and_b32 s7, s7, 0xffff
	s_mul_i32 s6, s6, s7
	v_add_u32_e32 v0, s6, v0
	v_mul_lo_u32 v20, v0, s8
	v_mov_b32_e32 v2, s1
	s_add_u32 s18, s0, 16
	s_addc_u32 s8, s1, 0
	v_ashrrev_i32_e32 v21, 31, v20
	v_lshlrev_b64 v[0:1], 4, v[20:21]
	v_add_u32_e32 v36, 14, v20
	v_add_co_u32_e32 v0, vcc, s0, v0
	v_addc_co_u32_e32 v1, vcc, v2, v1, vcc
	v_add_co_u32_e32 v21, vcc, 16, v0
	v_addc_co_u32_e32 v22, vcc, 0, v1, vcc
	s_mov_b64 s[6:7], 0
	v_mov_b32_e32 v37, s8
	v_mov_b32_e32 v38, s3
	;; [unrolled: 1-line block ×3, first 2 shown]
	s_branch .LBB21_2
.LBB21_1:                               ;   in Loop: Header=BB21_2 Depth=1
	s_add_i32 s19, s19, 1
	s_add_u32 s6, s6, 28
	s_addc_u32 s7, s7, 0
	s_cmp_eq_u32 s19, 7
	v_add_u32_e32 v23, 14, v23
	s_cbranch_scc1 .LBB21_8
.LBB21_2:                               ; =>This Loop Header: Depth=1
                                        ;     Child Loop BB21_4 Depth 2
                                        ;       Child Loop BB21_6 Depth 3
	v_ashrrev_i32_e32 v24, 31, v23
	v_lshlrev_b64 v[0:1], 4, v[23:24]
	v_mov_b32_e32 v27, v22
	v_add_co_u32_e32 v24, vcc, s18, v0
	v_addc_co_u32_e32 v25, vcc, v37, v1, vcc
	s_mul_i32 s3, s19, 7
	v_mov_b32_e32 v26, v21
	v_mov_b32_e32 v39, v36
	s_mov_b64 s[8:9], 0
	s_mov_b32 s20, 0
	s_branch .LBB21_4
.LBB21_3:                               ;   in Loop: Header=BB21_4 Depth=2
	s_add_i32 s20, s20, 1
	s_add_u32 s8, s8, 4
	s_addc_u32 s9, s9, 0
	v_add_co_u32_e32 v26, vcc, 32, v26
	v_add_u32_e32 v39, 2, v39
	s_cmp_eq_u32 s20, 7
	v_addc_co_u32_e32 v27, vcc, 0, v27, vcc
	global_store_dwordx4 v[28:29], v[0:3], off offset:16
	global_store_dwordx4 v[28:29], v[4:7], off
	s_cbranch_scc1 .LBB21_1
.LBB21_4:                               ;   Parent Loop BB21_2 Depth=1
                                        ; =>  This Loop Header: Depth=2
                                        ;       Child Loop BB21_6 Depth 3
	s_add_i32 s10, s20, s3
	v_lshl_add_u32 v0, s10, 1, v20
	v_ashrrev_i32_e32 v1, 31, v0
	v_lshlrev_b64 v[0:1], 4, v[0:1]
	v_mov_b32_e32 v33, v27
	v_add_co_u32_e32 v28, vcc, s2, v0
	v_addc_co_u32_e32 v29, vcc, v38, v1, vcc
	global_load_dwordx4 v[12:15], v[28:29], off offset:16
	global_load_dwordx4 v[8:11], v[28:29], off
	v_mov_b32_e32 v35, v25
	s_mov_b32 s21, 2
	v_mov_b32_e32 v32, v26
	v_mov_b32_e32 v34, v24
	;; [unrolled: 1-line block ×3, first 2 shown]
	s_mov_b64 s[12:13], s[8:9]
	s_mov_b64 s[10:11], s[6:7]
	s_branch .LBB21_6
.LBB21_5:                               ;   in Loop: Header=BB21_6 Depth=3
	v_ashrrev_i32_e32 v31, 31, v30
	v_lshlrev_b64 v[8:9], 4, v[30:31]
	v_add_u32_e32 v16, s21, v23
	v_ashrrev_i32_e32 v17, 31, v16
	v_mov_b32_e32 v10, s1
	v_add_co_u32_e32 v8, vcc, s0, v8
	v_lshlrev_b64 v[16:17], 4, v[16:17]
	v_addc_co_u32_e32 v9, vcc, v10, v9, vcc
	global_load_dwordx4 v[12:15], v[8:9], off offset:16
	s_nop 0
	global_load_dwordx4 v[8:11], v[8:9], off
	v_mov_b32_e32 v18, s1
	v_add_co_u32_e32 v16, vcc, s0, v16
	v_addc_co_u32_e32 v17, vcc, v18, v17, vcc
	global_load_dwordx4 v[40:43], v[16:17], off
	s_nop 0
	global_load_dwordx4 v[16:19], v[16:17], off offset:16
	s_load_dword s22, s[14:15], 0x4
	s_load_dword s23, s[16:17], 0x1c
	s_nop 0
	s_load_dword s16, s[16:17], 0xe0
	s_nop 0
	s_load_dword s14, s[14:15], 0xc8
	s_add_u32 s10, s10, 8
	v_add_co_u32_e32 v34, vcc, 64, v34
	v_addc_co_u32_e32 v35, vcc, 0, v35, vcc
	s_addc_u32 s11, s11, 0
	s_add_i32 s21, s21, 4
	v_add_co_u32_e32 v32, vcc, 0x1c0, v32
	s_add_u32 s12, s12, 56
	v_add_u32_e32 v30, 28, v30
	v_addc_co_u32_e32 v33, vcc, 0, v33, vcc
	s_addc_u32 s13, s13, 0
	s_waitcnt vmcnt(3) lgkmcnt(0)
	v_fma_f32 v47, s22, v12, v4
	s_waitcnt vmcnt(2)
	v_fma_f32 v31, -v8, s22, v0
	v_fma_f32 v44, -v9, s22, v1
	;; [unrolled: 1-line block ×4, first 2 shown]
	v_fma_f32 v48, s22, v13, v5
	v_fma_f32 v49, s22, v14, v6
	;; [unrolled: 1-line block ×3, first 2 shown]
	s_waitcnt vmcnt(1)
	v_fmac_f32_e32 v46, s23, v43
	v_fmac_f32_e32 v45, s23, v42
	;; [unrolled: 1-line block ×4, first 2 shown]
	v_fma_f32 v43, -v43, s16, v50
	v_fma_f32 v42, -v42, s16, v49
	;; [unrolled: 1-line block ×4, first 2 shown]
	v_fmac_f32_e32 v31, s14, v12
	v_fmac_f32_e32 v44, s14, v13
	;; [unrolled: 1-line block ×8, first 2 shown]
	s_waitcnt vmcnt(0)
	v_fma_f32 v15, -v19, s16, v46
	v_fma_f32 v14, -v18, s16, v45
	;; [unrolled: 1-line block ×8, first 2 shown]
	s_cbranch_execz .LBB21_3
.LBB21_6:                               ;   Parent Loop BB21_2 Depth=1
                                        ;     Parent Loop BB21_4 Depth=2
                                        ; =>    This Inner Loop Header: Depth=3
	global_load_dwordx4 v[0:3], v[32:33], off offset:-16
	global_load_dwordx4 v[4:7], v[32:33], off
	global_load_dwordx4 v[16:19], v[34:35], off offset:-16
	global_load_dwordx4 v[40:43], v[34:35], off
	s_add_u32 s14, s4, s10
	s_addc_u32 s15, s5, s11
	s_add_u32 s16, s4, s12
	s_addc_u32 s17, s5, s13
	s_load_dword s22, s[14:15], 0x0
	s_load_dword s23, s[16:17], 0x0
	;; [unrolled: 1-line block ×4, first 2 shown]
	s_cmp_eq_u32 s21, 14
	s_waitcnt vmcnt(3) lgkmcnt(0)
	v_fma_f32 v12, -v0, s22, v12
	v_fma_f32 v13, -v1, s22, v13
	;; [unrolled: 1-line block ×4, first 2 shown]
	s_waitcnt vmcnt(2)
	v_fma_f32 v8, s22, v4, v8
	v_fma_f32 v9, s22, v5, v9
	;; [unrolled: 1-line block ×3, first 2 shown]
	v_fmac_f32_e32 v11, s22, v7
	s_waitcnt vmcnt(1)
	v_fmac_f32_e32 v15, s23, v19
	v_fmac_f32_e32 v14, s23, v18
	;; [unrolled: 1-line block ×4, first 2 shown]
	v_fma_f32 v11, -v19, s24, v11
	v_fma_f32 v10, -v18, s24, v10
	;; [unrolled: 1-line block ×4, first 2 shown]
	v_fmac_f32_e32 v12, s25, v4
	v_fmac_f32_e32 v13, s25, v5
	;; [unrolled: 1-line block ×8, first 2 shown]
	s_waitcnt vmcnt(0)
	v_fma_f32 v3, -v43, s24, v15
	v_fma_f32 v2, -v42, s24, v14
	;; [unrolled: 1-line block ×8, first 2 shown]
	s_cbranch_scc0 .LBB21_5
; %bb.7:                                ;   in Loop: Header=BB21_4 Depth=2
                                        ; implicit-def: $vgpr8_vgpr9_vgpr10_vgpr11
                                        ; implicit-def: $vgpr12_vgpr13_vgpr14_vgpr15
                                        ; implicit-def: $sgpr10_sgpr11
                                        ; implicit-def: $sgpr21
                                        ; implicit-def: $sgpr12_sgpr13
                                        ; implicit-def: $vgpr30
                                        ; implicit-def: $vgpr34_vgpr35
                                        ; implicit-def: $vgpr32_vgpr33
	s_branch .LBB21_3
.LBB21_8:
	s_endpgm
	.section	.rodata,"a",@progbits
	.p2align	6, 0x0
	.amdhsa_kernel _Z34comm_manual_aosoa_constants_directPK15HIP_vector_typeIfLj2EEPS0_S2_
		.amdhsa_group_segment_fixed_size 0
		.amdhsa_private_segment_fixed_size 0
		.amdhsa_kernarg_size 280
		.amdhsa_user_sgpr_count 6
		.amdhsa_user_sgpr_private_segment_buffer 1
		.amdhsa_user_sgpr_dispatch_ptr 0
		.amdhsa_user_sgpr_queue_ptr 0
		.amdhsa_user_sgpr_kernarg_segment_ptr 1
		.amdhsa_user_sgpr_dispatch_id 0
		.amdhsa_user_sgpr_flat_scratch_init 0
		.amdhsa_user_sgpr_private_segment_size 0
		.amdhsa_uses_dynamic_stack 0
		.amdhsa_system_sgpr_private_segment_wavefront_offset 0
		.amdhsa_system_sgpr_workgroup_id_x 1
		.amdhsa_system_sgpr_workgroup_id_y 0
		.amdhsa_system_sgpr_workgroup_id_z 0
		.amdhsa_system_sgpr_workgroup_info 0
		.amdhsa_system_vgpr_workitem_id 0
		.amdhsa_next_free_vgpr 51
		.amdhsa_next_free_sgpr 26
		.amdhsa_reserve_vcc 1
		.amdhsa_reserve_flat_scratch 0
		.amdhsa_float_round_mode_32 0
		.amdhsa_float_round_mode_16_64 0
		.amdhsa_float_denorm_mode_32 3
		.amdhsa_float_denorm_mode_16_64 3
		.amdhsa_dx10_clamp 1
		.amdhsa_ieee_mode 1
		.amdhsa_fp16_overflow 0
		.amdhsa_exception_fp_ieee_invalid_op 0
		.amdhsa_exception_fp_denorm_src 0
		.amdhsa_exception_fp_ieee_div_zero 0
		.amdhsa_exception_fp_ieee_overflow 0
		.amdhsa_exception_fp_ieee_underflow 0
		.amdhsa_exception_fp_ieee_inexact 0
		.amdhsa_exception_int_div_zero 0
	.end_amdhsa_kernel
	.text
.Lfunc_end21:
	.size	_Z34comm_manual_aosoa_constants_directPK15HIP_vector_typeIfLj2EEPS0_S2_, .Lfunc_end21-_Z34comm_manual_aosoa_constants_directPK15HIP_vector_typeIfLj2EEPS0_S2_
                                        ; -- End function
	.set _Z34comm_manual_aosoa_constants_directPK15HIP_vector_typeIfLj2EEPS0_S2_.num_vgpr, 51
	.set _Z34comm_manual_aosoa_constants_directPK15HIP_vector_typeIfLj2EEPS0_S2_.num_agpr, 0
	.set _Z34comm_manual_aosoa_constants_directPK15HIP_vector_typeIfLj2EEPS0_S2_.numbered_sgpr, 26
	.set _Z34comm_manual_aosoa_constants_directPK15HIP_vector_typeIfLj2EEPS0_S2_.num_named_barrier, 0
	.set _Z34comm_manual_aosoa_constants_directPK15HIP_vector_typeIfLj2EEPS0_S2_.private_seg_size, 0
	.set _Z34comm_manual_aosoa_constants_directPK15HIP_vector_typeIfLj2EEPS0_S2_.uses_vcc, 1
	.set _Z34comm_manual_aosoa_constants_directPK15HIP_vector_typeIfLj2EEPS0_S2_.uses_flat_scratch, 0
	.set _Z34comm_manual_aosoa_constants_directPK15HIP_vector_typeIfLj2EEPS0_S2_.has_dyn_sized_stack, 0
	.set _Z34comm_manual_aosoa_constants_directPK15HIP_vector_typeIfLj2EEPS0_S2_.has_recursion, 0
	.set _Z34comm_manual_aosoa_constants_directPK15HIP_vector_typeIfLj2EEPS0_S2_.has_indirect_call, 0
	.section	.AMDGPU.csdata,"",@progbits
; Kernel info:
; codeLenInByte = 1048
; TotalNumSgprs: 30
; NumVgprs: 51
; ScratchSize: 0
; MemoryBound: 1
; FloatMode: 240
; IeeeMode: 1
; LDSByteSize: 0 bytes/workgroup (compile time only)
; SGPRBlocks: 3
; VGPRBlocks: 12
; NumSGPRsForWavesPerEU: 30
; NumVGPRsForWavesPerEU: 51
; Occupancy: 4
; WaveLimiterHint : 0
; COMPUTE_PGM_RSRC2:SCRATCH_EN: 0
; COMPUTE_PGM_RSRC2:USER_SGPR: 6
; COMPUTE_PGM_RSRC2:TRAP_HANDLER: 0
; COMPUTE_PGM_RSRC2:TGID_X_EN: 1
; COMPUTE_PGM_RSRC2:TGID_Y_EN: 0
; COMPUTE_PGM_RSRC2:TGID_Z_EN: 0
; COMPUTE_PGM_RSRC2:TIDIG_COMP_CNT: 0
	.text
	.protected	_Z43comm_manual_aosoa_constants_direct_prefetchPK15HIP_vector_typeIfLj2EEPS0_S2_ ; -- Begin function _Z43comm_manual_aosoa_constants_direct_prefetchPK15HIP_vector_typeIfLj2EEPS0_S2_
	.globl	_Z43comm_manual_aosoa_constants_direct_prefetchPK15HIP_vector_typeIfLj2EEPS0_S2_
	.p2align	8
	.type	_Z43comm_manual_aosoa_constants_direct_prefetchPK15HIP_vector_typeIfLj2EEPS0_S2_,@function
_Z43comm_manual_aosoa_constants_direct_prefetchPK15HIP_vector_typeIfLj2EEPS0_S2_: ; @_Z43comm_manual_aosoa_constants_direct_prefetchPK15HIP_vector_typeIfLj2EEPS0_S2_
; %bb.0:
	s_load_dword s7, s[4:5], 0x24
	s_load_dwordx4 s[0:3], s[4:5], 0x0
	s_movk_i32 s8, 0x62
	s_load_dwordx2 s[4:5], s[4:5], 0x10
	s_mov_b32 s19, 0
	s_waitcnt lgkmcnt(0)
	s_and_b32 s7, s7, 0xffff
	s_mul_i32 s6, s6, s7
	v_add_u32_e32 v0, s6, v0
	v_mul_lo_u32 v20, v0, s8
	v_mov_b32_e32 v2, s1
	s_add_u32 s18, s0, 16
	s_addc_u32 s8, s1, 0
	v_ashrrev_i32_e32 v21, 31, v20
	v_lshlrev_b64 v[0:1], 4, v[20:21]
	v_add_u32_e32 v36, 14, v20
	v_add_co_u32_e32 v0, vcc, s0, v0
	v_addc_co_u32_e32 v1, vcc, v2, v1, vcc
	v_add_co_u32_e32 v21, vcc, 16, v0
	v_addc_co_u32_e32 v22, vcc, 0, v1, vcc
	s_mov_b64 s[6:7], 0
	v_mov_b32_e32 v37, s8
	v_mov_b32_e32 v38, s3
	;; [unrolled: 1-line block ×3, first 2 shown]
	s_branch .LBB22_2
.LBB22_1:                               ;   in Loop: Header=BB22_2 Depth=1
	s_add_i32 s19, s19, 1
	s_add_u32 s6, s6, 28
	s_addc_u32 s7, s7, 0
	s_cmp_eq_u32 s19, 7
	v_add_u32_e32 v23, 14, v23
	s_cbranch_scc1 .LBB22_8
.LBB22_2:                               ; =>This Loop Header: Depth=1
                                        ;     Child Loop BB22_4 Depth 2
                                        ;       Child Loop BB22_6 Depth 3
	v_ashrrev_i32_e32 v24, 31, v23
	v_lshlrev_b64 v[0:1], 4, v[23:24]
	v_mov_b32_e32 v27, v22
	v_add_co_u32_e32 v24, vcc, s18, v0
	v_addc_co_u32_e32 v25, vcc, v37, v1, vcc
	s_mul_i32 s3, s19, 7
	v_mov_b32_e32 v26, v21
	v_mov_b32_e32 v39, v36
	s_mov_b64 s[8:9], 0
	s_mov_b32 s20, 0
	s_branch .LBB22_4
.LBB22_3:                               ;   in Loop: Header=BB22_4 Depth=2
	s_add_i32 s20, s20, 1
	s_add_u32 s8, s8, 4
	s_addc_u32 s9, s9, 0
	v_add_co_u32_e32 v26, vcc, 32, v26
	v_add_u32_e32 v39, 2, v39
	s_cmp_eq_u32 s20, 7
	v_addc_co_u32_e32 v27, vcc, 0, v27, vcc
	global_store_dwordx4 v[28:29], v[0:3], off offset:16
	global_store_dwordx4 v[28:29], v[4:7], off
	s_cbranch_scc1 .LBB22_1
.LBB22_4:                               ;   Parent Loop BB22_2 Depth=1
                                        ; =>  This Loop Header: Depth=2
                                        ;       Child Loop BB22_6 Depth 3
	s_add_i32 s10, s20, s3
	v_lshl_add_u32 v0, s10, 1, v20
	v_ashrrev_i32_e32 v1, 31, v0
	v_lshlrev_b64 v[0:1], 4, v[0:1]
	v_mov_b32_e32 v33, v27
	v_add_co_u32_e32 v28, vcc, s2, v0
	v_addc_co_u32_e32 v29, vcc, v38, v1, vcc
	global_load_dwordx4 v[12:15], v[28:29], off offset:16
	global_load_dwordx4 v[8:11], v[28:29], off
	v_mov_b32_e32 v35, v25
	s_mov_b32 s21, 2
	v_mov_b32_e32 v32, v26
	v_mov_b32_e32 v34, v24
	;; [unrolled: 1-line block ×3, first 2 shown]
	s_mov_b64 s[12:13], s[8:9]
	s_mov_b64 s[10:11], s[6:7]
	s_branch .LBB22_6
.LBB22_5:                               ;   in Loop: Header=BB22_4 Depth=2
                                        ; implicit-def: $vgpr8_vgpr9_vgpr10_vgpr11
                                        ; implicit-def: $vgpr12_vgpr13_vgpr14_vgpr15
                                        ; implicit-def: $sgpr10_sgpr11
                                        ; implicit-def: $sgpr21
                                        ; implicit-def: $sgpr12_sgpr13
                                        ; implicit-def: $vgpr30
                                        ; implicit-def: $vgpr34_vgpr35
                                        ; implicit-def: $vgpr32_vgpr33
	s_branch .LBB22_3
.LBB22_6:                               ;   Parent Loop BB22_2 Depth=1
                                        ;     Parent Loop BB22_4 Depth=2
                                        ; =>    This Inner Loop Header: Depth=3
	global_load_dwordx4 v[0:3], v[32:33], off offset:-16
	global_load_dwordx4 v[4:7], v[32:33], off
	global_load_dwordx4 v[16:19], v[34:35], off offset:-16
	global_load_dwordx4 v[40:43], v[34:35], off
	s_add_u32 s14, s4, s10
	s_addc_u32 s15, s5, s11
	s_add_u32 s16, s4, s12
	s_addc_u32 s17, s5, s13
	s_load_dword s22, s[14:15], 0x0
	s_load_dword s23, s[16:17], 0x0
	;; [unrolled: 1-line block ×4, first 2 shown]
	s_cmp_eq_u32 s21, 14
	s_waitcnt vmcnt(3) lgkmcnt(0)
	v_fma_f32 v12, -v0, s22, v12
	v_fma_f32 v13, -v1, s22, v13
	;; [unrolled: 1-line block ×4, first 2 shown]
	s_waitcnt vmcnt(2)
	v_fma_f32 v8, s22, v4, v8
	v_fma_f32 v9, s22, v5, v9
	;; [unrolled: 1-line block ×3, first 2 shown]
	v_fmac_f32_e32 v11, s22, v7
	s_waitcnt vmcnt(1)
	v_fmac_f32_e32 v15, s23, v19
	v_fmac_f32_e32 v14, s23, v18
	;; [unrolled: 1-line block ×4, first 2 shown]
	v_fma_f32 v11, -v19, s24, v11
	v_fma_f32 v10, -v18, s24, v10
	;; [unrolled: 1-line block ×4, first 2 shown]
	v_fmac_f32_e32 v12, s25, v4
	v_fmac_f32_e32 v13, s25, v5
	;; [unrolled: 1-line block ×8, first 2 shown]
	s_waitcnt vmcnt(0)
	v_fma_f32 v3, -v43, s24, v15
	v_fma_f32 v2, -v42, s24, v14
	;; [unrolled: 1-line block ×8, first 2 shown]
	s_cbranch_scc1 .LBB22_5
; %bb.7:                                ;   in Loop: Header=BB22_6 Depth=3
	v_ashrrev_i32_e32 v31, 31, v30
	v_lshlrev_b64 v[8:9], 4, v[30:31]
	v_add_u32_e32 v16, s21, v23
	v_ashrrev_i32_e32 v17, 31, v16
	v_mov_b32_e32 v10, s1
	v_add_co_u32_e32 v8, vcc, s0, v8
	v_lshlrev_b64 v[16:17], 4, v[16:17]
	v_addc_co_u32_e32 v9, vcc, v10, v9, vcc
	global_load_dwordx4 v[12:15], v[8:9], off offset:16
	s_nop 0
	global_load_dwordx4 v[8:11], v[8:9], off
	v_mov_b32_e32 v18, s1
	v_add_co_u32_e32 v16, vcc, s0, v16
	v_addc_co_u32_e32 v17, vcc, v18, v17, vcc
	global_load_dwordx4 v[40:43], v[16:17], off
	s_nop 0
	global_load_dwordx4 v[16:19], v[16:17], off offset:16
	s_load_dword s22, s[14:15], 0x4
	s_load_dword s23, s[16:17], 0x1c
	s_nop 0
	s_load_dword s16, s[16:17], 0xe0
	s_nop 0
	s_load_dword s14, s[14:15], 0xc8
	s_add_u32 s10, s10, 8
	v_add_co_u32_e32 v34, vcc, 64, v34
	v_addc_co_u32_e32 v35, vcc, 0, v35, vcc
	s_addc_u32 s11, s11, 0
	s_add_i32 s21, s21, 4
	v_add_co_u32_e32 v32, vcc, 0x1c0, v32
	s_add_u32 s12, s12, 56
	v_add_u32_e32 v30, 28, v30
	v_addc_co_u32_e32 v33, vcc, 0, v33, vcc
	s_addc_u32 s13, s13, 0
	s_waitcnt vmcnt(3) lgkmcnt(0)
	v_fma_f32 v47, s22, v12, v4
	s_waitcnt vmcnt(2)
	v_fma_f32 v31, -v8, s22, v0
	v_fma_f32 v44, -v9, s22, v1
	;; [unrolled: 1-line block ×4, first 2 shown]
	v_fma_f32 v48, s22, v13, v5
	v_fma_f32 v49, s22, v14, v6
	;; [unrolled: 1-line block ×3, first 2 shown]
	s_waitcnt vmcnt(1)
	v_fmac_f32_e32 v46, s23, v43
	v_fmac_f32_e32 v45, s23, v42
	;; [unrolled: 1-line block ×4, first 2 shown]
	v_fma_f32 v43, -v43, s16, v50
	v_fma_f32 v42, -v42, s16, v49
	v_fma_f32 v41, -v41, s16, v48
	v_fma_f32 v40, -v40, s16, v47
	v_fmac_f32_e32 v31, s14, v12
	v_fmac_f32_e32 v44, s14, v13
	;; [unrolled: 1-line block ×8, first 2 shown]
	s_waitcnt vmcnt(0)
	v_fma_f32 v15, -v19, s16, v46
	v_fma_f32 v14, -v18, s16, v45
	;; [unrolled: 1-line block ×8, first 2 shown]
	s_cbranch_execnz .LBB22_6
	s_branch .LBB22_3
.LBB22_8:
	s_endpgm
	.section	.rodata,"a",@progbits
	.p2align	6, 0x0
	.amdhsa_kernel _Z43comm_manual_aosoa_constants_direct_prefetchPK15HIP_vector_typeIfLj2EEPS0_S2_
		.amdhsa_group_segment_fixed_size 0
		.amdhsa_private_segment_fixed_size 0
		.amdhsa_kernarg_size 280
		.amdhsa_user_sgpr_count 6
		.amdhsa_user_sgpr_private_segment_buffer 1
		.amdhsa_user_sgpr_dispatch_ptr 0
		.amdhsa_user_sgpr_queue_ptr 0
		.amdhsa_user_sgpr_kernarg_segment_ptr 1
		.amdhsa_user_sgpr_dispatch_id 0
		.amdhsa_user_sgpr_flat_scratch_init 0
		.amdhsa_user_sgpr_private_segment_size 0
		.amdhsa_uses_dynamic_stack 0
		.amdhsa_system_sgpr_private_segment_wavefront_offset 0
		.amdhsa_system_sgpr_workgroup_id_x 1
		.amdhsa_system_sgpr_workgroup_id_y 0
		.amdhsa_system_sgpr_workgroup_id_z 0
		.amdhsa_system_sgpr_workgroup_info 0
		.amdhsa_system_vgpr_workitem_id 0
		.amdhsa_next_free_vgpr 51
		.amdhsa_next_free_sgpr 26
		.amdhsa_reserve_vcc 1
		.amdhsa_reserve_flat_scratch 0
		.amdhsa_float_round_mode_32 0
		.amdhsa_float_round_mode_16_64 0
		.amdhsa_float_denorm_mode_32 3
		.amdhsa_float_denorm_mode_16_64 3
		.amdhsa_dx10_clamp 1
		.amdhsa_ieee_mode 1
		.amdhsa_fp16_overflow 0
		.amdhsa_exception_fp_ieee_invalid_op 0
		.amdhsa_exception_fp_denorm_src 0
		.amdhsa_exception_fp_ieee_div_zero 0
		.amdhsa_exception_fp_ieee_overflow 0
		.amdhsa_exception_fp_ieee_underflow 0
		.amdhsa_exception_fp_ieee_inexact 0
		.amdhsa_exception_int_div_zero 0
	.end_amdhsa_kernel
	.text
.Lfunc_end22:
	.size	_Z43comm_manual_aosoa_constants_direct_prefetchPK15HIP_vector_typeIfLj2EEPS0_S2_, .Lfunc_end22-_Z43comm_manual_aosoa_constants_direct_prefetchPK15HIP_vector_typeIfLj2EEPS0_S2_
                                        ; -- End function
	.set _Z43comm_manual_aosoa_constants_direct_prefetchPK15HIP_vector_typeIfLj2EEPS0_S2_.num_vgpr, 51
	.set _Z43comm_manual_aosoa_constants_direct_prefetchPK15HIP_vector_typeIfLj2EEPS0_S2_.num_agpr, 0
	.set _Z43comm_manual_aosoa_constants_direct_prefetchPK15HIP_vector_typeIfLj2EEPS0_S2_.numbered_sgpr, 26
	.set _Z43comm_manual_aosoa_constants_direct_prefetchPK15HIP_vector_typeIfLj2EEPS0_S2_.num_named_barrier, 0
	.set _Z43comm_manual_aosoa_constants_direct_prefetchPK15HIP_vector_typeIfLj2EEPS0_S2_.private_seg_size, 0
	.set _Z43comm_manual_aosoa_constants_direct_prefetchPK15HIP_vector_typeIfLj2EEPS0_S2_.uses_vcc, 1
	.set _Z43comm_manual_aosoa_constants_direct_prefetchPK15HIP_vector_typeIfLj2EEPS0_S2_.uses_flat_scratch, 0
	.set _Z43comm_manual_aosoa_constants_direct_prefetchPK15HIP_vector_typeIfLj2EEPS0_S2_.has_dyn_sized_stack, 0
	.set _Z43comm_manual_aosoa_constants_direct_prefetchPK15HIP_vector_typeIfLj2EEPS0_S2_.has_recursion, 0
	.set _Z43comm_manual_aosoa_constants_direct_prefetchPK15HIP_vector_typeIfLj2EEPS0_S2_.has_indirect_call, 0
	.section	.AMDGPU.csdata,"",@progbits
; Kernel info:
; codeLenInByte = 1052
; TotalNumSgprs: 30
; NumVgprs: 51
; ScratchSize: 0
; MemoryBound: 1
; FloatMode: 240
; IeeeMode: 1
; LDSByteSize: 0 bytes/workgroup (compile time only)
; SGPRBlocks: 3
; VGPRBlocks: 12
; NumSGPRsForWavesPerEU: 30
; NumVGPRsForWavesPerEU: 51
; Occupancy: 4
; WaveLimiterHint : 0
; COMPUTE_PGM_RSRC2:SCRATCH_EN: 0
; COMPUTE_PGM_RSRC2:USER_SGPR: 6
; COMPUTE_PGM_RSRC2:TRAP_HANDLER: 0
; COMPUTE_PGM_RSRC2:TGID_X_EN: 1
; COMPUTE_PGM_RSRC2:TGID_Y_EN: 0
; COMPUTE_PGM_RSRC2:TGID_Z_EN: 0
; COMPUTE_PGM_RSRC2:TIDIG_COMP_CNT: 0
	.text
	.protected	_Z39comm_manual_aosoa_constants_direct_permPK15HIP_vector_typeIfLj2EEPS0_S2_ ; -- Begin function _Z39comm_manual_aosoa_constants_direct_permPK15HIP_vector_typeIfLj2EEPS0_S2_
	.globl	_Z39comm_manual_aosoa_constants_direct_permPK15HIP_vector_typeIfLj2EEPS0_S2_
	.p2align	8
	.type	_Z39comm_manual_aosoa_constants_direct_permPK15HIP_vector_typeIfLj2EEPS0_S2_,@function
_Z39comm_manual_aosoa_constants_direct_permPK15HIP_vector_typeIfLj2EEPS0_S2_: ; @_Z39comm_manual_aosoa_constants_direct_permPK15HIP_vector_typeIfLj2EEPS0_S2_
; %bb.0:
	s_load_dword s7, s[4:5], 0x24
	s_load_dwordx4 s[0:3], s[4:5], 0x0
	s_movk_i32 s8, 0x62
	s_load_dwordx2 s[4:5], s[4:5], 0x10
	s_mov_b32 s17, 0
	s_waitcnt lgkmcnt(0)
	s_and_b32 s7, s7, 0xffff
	s_mul_i32 s6, s6, s7
	v_add_u32_e32 v0, s6, v0
	v_mul_lo_u32 v8, v0, s8
	v_mov_b32_e32 v2, s1
	s_add_u32 s16, s2, 16
	s_addc_u32 s6, s3, 0
	v_ashrrev_i32_e32 v9, 31, v8
	v_lshlrev_b64 v[0:1], 4, v[8:9]
	v_add_u32_e32 v24, 2, v8
	v_add_co_u32_e32 v0, vcc, s0, v0
	v_addc_co_u32_e32 v1, vcc, v2, v1, vcc
	v_add_co_u32_e32 v9, vcc, 16, v0
	v_addc_co_u32_e32 v10, vcc, 0, v1, vcc
	s_mov_b32 s7, 0
	v_mov_b32_e32 v25, s6
	v_mov_b32_e32 v26, s1
	;; [unrolled: 1-line block ×4, first 2 shown]
	s_branch .LBB23_2
.LBB23_1:                               ;   in Loop: Header=BB23_2 Depth=1
	s_add_i32 s17, s17, 1
	v_add_u32_e32 v27, 14, v27
	s_cmp_eq_u32 s17, 7
	v_add_u32_e32 v11, 14, v11
	s_cbranch_scc1 .LBB23_8
.LBB23_2:                               ; =>This Loop Header: Depth=1
                                        ;     Child Loop BB23_4 Depth 2
                                        ;       Child Loop BB23_6 Depth 3
	v_ashrrev_i32_e32 v12, 31, v11
	v_lshlrev_b64 v[0:1], 4, v[11:12]
	v_mov_b32_e32 v15, v10
	v_add_co_u32_e32 v12, vcc, s16, v0
	v_addc_co_u32_e32 v13, vcc, v25, v1, vcc
	s_mul_i32 s18, s17, 7
	v_mov_b32_e32 v14, v9
	v_mov_b32_e32 v28, v24
	s_mov_b64 s[8:9], s[4:5]
	s_mov_b32 s19, s7
	s_branch .LBB23_4
.LBB23_3:                               ;   in Loop: Header=BB23_4 Depth=2
	s_add_i32 s19, s19, 1
	s_add_u32 s8, s8, 28
	s_addc_u32 s9, s9, 0
	v_add_co_u32_e32 v14, vcc, 0xe0, v14
	v_add_u32_e32 v28, 14, v28
	s_cmp_eq_u32 s19, 7
	v_addc_co_u32_e32 v15, vcc, 0, v15, vcc
	s_cbranch_scc1 .LBB23_1
.LBB23_4:                               ;   Parent Loop BB23_2 Depth=1
                                        ; =>  This Loop Header: Depth=2
                                        ;       Child Loop BB23_6 Depth 3
	s_add_i32 s6, s19, s18
	v_lshl_add_u32 v0, s6, 1, v8
	v_ashrrev_i32_e32 v1, 31, v0
	v_lshlrev_b64 v[0:1], 4, v[0:1]
	s_lshl_b64 s[10:11], s[6:7], 2
	v_add_co_u32_e32 v16, vcc, s0, v0
	v_addc_co_u32_e32 v17, vcc, v26, v1, vcc
	global_load_dwordx4 v[0:3], v[16:17], off offset:16
	global_load_dwordx4 v[4:7], v[16:17], off
	s_add_u32 s10, s4, s10
	s_addc_u32 s11, s5, s11
	s_load_dword s6, s[10:11], 0x0
	s_load_dword s20, s[10:11], 0xc4
	v_mov_b32_e32 v17, v13
	v_mov_b32_e32 v19, v15
	s_mov_b64 s[10:11], 0
	s_waitcnt lgkmcnt(0)
	s_mov_b32 s21, s6
	s_mov_b32 s22, s6
	;; [unrolled: 1-line block ×6, first 2 shown]
	v_mov_b32_e32 v16, v12
	v_mov_b32_e32 v18, v14
	;; [unrolled: 1-line block ×4, first 2 shown]
	s_branch .LBB23_6
.LBB23_5:                               ;   in Loop: Header=BB23_6 Depth=3
	s_andn2_b64 vcc, exec, s[14:15]
	s_cbranch_vccz .LBB23_3
.LBB23_6:                               ;   Parent Loop BB23_2 Depth=1
                                        ;     Parent Loop BB23_4 Depth=2
                                        ; =>    This Inner Loop Header: Depth=3
	global_load_dwordx4 v[29:32], v[16:17], off
	global_load_dwordx4 v[33:36], v[18:19], off offset:-16
	global_load_dwordx4 v[37:40], v[18:19], off
	global_load_dwordx4 v[41:44], v[16:17], off offset:-16
	s_add_u32 s12, s8, s10
	s_addc_u32 s13, s9, s11
	s_load_dword s14, s[12:13], 0xc4
	s_load_dword s15, s[12:13], 0x0
	s_cmp_eq_u32 s10, 24
	s_waitcnt vmcnt(2)
	v_fma_f32 v21, -s6, v33, v29
	v_fma_f32 v23, -s21, v34, v30
	;; [unrolled: 1-line block ×4, first 2 shown]
	s_waitcnt vmcnt(0)
	v_fmac_f32_e32 v44, s23, v40
	v_fma_f32 v31, s6, v37, v41
	v_fma_f32 v32, s21, v38, v42
	;; [unrolled: 1-line block ×3, first 2 shown]
	s_waitcnt lgkmcnt(0)
	v_fma_f32 v42, -v7, s14, v44
	v_fmac_f32_e32 v30, s15, v7
	v_fmac_f32_e32 v29, s15, v6
	;; [unrolled: 1-line block ×4, first 2 shown]
	v_fma_f32 v41, -v6, s14, v41
	v_fma_f32 v43, -v5, s14, v32
	;; [unrolled: 1-line block ×3, first 2 shown]
	v_fmac_f32_e32 v21, s20, v37
	v_fmac_f32_e32 v23, s24, v38
	;; [unrolled: 1-line block ×8, first 2 shown]
	v_fma_f32 v32, -v3, s14, v30
	v_fma_f32 v31, -v2, s14, v29
	;; [unrolled: 1-line block ×8, first 2 shown]
	s_mov_b64 s[14:15], -1
	global_store_dwordx4 v[16:17], v[29:32], off
	global_store_dwordx4 v[16:17], v[33:36], off offset:-16
	s_cbranch_scc1 .LBB23_5
; %bb.7:                                ;   in Loop: Header=BB23_6 Depth=3
	v_ashrrev_i32_e32 v23, 31, v22
	v_lshlrev_b64 v[29:30], 4, v[22:23]
	v_mov_b32_e32 v21, s1
	v_add_co_u32_e32 v37, vcc, s0, v29
	v_addc_co_u32_e32 v38, vcc, v21, v30, vcc
	v_ashrrev_i32_e32 v21, 31, v20
	v_lshlrev_b64 v[29:30], 4, v[20:21]
	v_mov_b32_e32 v21, s3
	v_add_co_u32_e32 v45, vcc, s2, v29
	v_addc_co_u32_e32 v46, vcc, v21, v30, vcc
	global_load_dwordx4 v[29:32], v[45:46], off offset:16
	global_load_dwordx4 v[33:36], v[37:38], off
	s_nop 0
	global_load_dwordx4 v[37:40], v[37:38], off offset:16
	s_nop 0
	global_load_dwordx4 v[41:44], v[45:46], off
	s_load_dword s14, s[12:13], 0x4
	s_nop 0
	s_load_dword s12, s[12:13], 0xc8
	v_add_co_u32_e32 v18, vcc, 64, v18
	v_addc_co_u32_e32 v19, vcc, 0, v19, vcc
	s_add_u32 s10, s10, 8
	v_add_co_u32_e32 v16, vcc, 64, v16
	v_addc_co_u32_e32 v17, vcc, 0, v17, vcc
	s_addc_u32 s11, s11, 0
	v_add_u32_e32 v22, 4, v22
	v_add_u32_e32 v20, 4, v20
	s_waitcnt vmcnt(2)
	v_fma_f32 v21, -s6, v33, v29
	v_fma_f32 v23, -s21, v34, v30
	;; [unrolled: 1-line block ×4, first 2 shown]
	s_waitcnt vmcnt(0)
	v_fma_f32 v31, s6, v37, v41
	v_fma_f32 v32, s21, v38, v42
	;; [unrolled: 1-line block ×3, first 2 shown]
	v_fmac_f32_e32 v44, s23, v40
	s_waitcnt lgkmcnt(0)
	v_fmac_f32_e32 v30, s14, v7
	v_fmac_f32_e32 v29, s14, v6
	;; [unrolled: 1-line block ×4, first 2 shown]
	v_fma_f32 v42, -v7, s12, v44
	v_fma_f32 v41, -v6, s12, v41
	;; [unrolled: 1-line block ×4, first 2 shown]
	v_fmac_f32_e32 v21, s20, v37
	v_fmac_f32_e32 v23, s24, v38
	;; [unrolled: 1-line block ×8, first 2 shown]
	v_fma_f32 v32, -v3, s12, v30
	v_fma_f32 v31, -v2, s12, v29
	;; [unrolled: 1-line block ×8, first 2 shown]
	s_mov_b64 s[14:15], 0
	global_store_dwordx4 v[45:46], v[29:32], off offset:16
	global_store_dwordx4 v[45:46], v[33:36], off
	s_branch .LBB23_5
.LBB23_8:
	s_endpgm
	.section	.rodata,"a",@progbits
	.p2align	6, 0x0
	.amdhsa_kernel _Z39comm_manual_aosoa_constants_direct_permPK15HIP_vector_typeIfLj2EEPS0_S2_
		.amdhsa_group_segment_fixed_size 0
		.amdhsa_private_segment_fixed_size 0
		.amdhsa_kernarg_size 280
		.amdhsa_user_sgpr_count 6
		.amdhsa_user_sgpr_private_segment_buffer 1
		.amdhsa_user_sgpr_dispatch_ptr 0
		.amdhsa_user_sgpr_queue_ptr 0
		.amdhsa_user_sgpr_kernarg_segment_ptr 1
		.amdhsa_user_sgpr_dispatch_id 0
		.amdhsa_user_sgpr_flat_scratch_init 0
		.amdhsa_user_sgpr_private_segment_size 0
		.amdhsa_uses_dynamic_stack 0
		.amdhsa_system_sgpr_private_segment_wavefront_offset 0
		.amdhsa_system_sgpr_workgroup_id_x 1
		.amdhsa_system_sgpr_workgroup_id_y 0
		.amdhsa_system_sgpr_workgroup_id_z 0
		.amdhsa_system_sgpr_workgroup_info 0
		.amdhsa_system_vgpr_workitem_id 0
		.amdhsa_next_free_vgpr 47
		.amdhsa_next_free_sgpr 27
		.amdhsa_reserve_vcc 1
		.amdhsa_reserve_flat_scratch 0
		.amdhsa_float_round_mode_32 0
		.amdhsa_float_round_mode_16_64 0
		.amdhsa_float_denorm_mode_32 3
		.amdhsa_float_denorm_mode_16_64 3
		.amdhsa_dx10_clamp 1
		.amdhsa_ieee_mode 1
		.amdhsa_fp16_overflow 0
		.amdhsa_exception_fp_ieee_invalid_op 0
		.amdhsa_exception_fp_denorm_src 0
		.amdhsa_exception_fp_ieee_div_zero 0
		.amdhsa_exception_fp_ieee_overflow 0
		.amdhsa_exception_fp_ieee_underflow 0
		.amdhsa_exception_fp_ieee_inexact 0
		.amdhsa_exception_int_div_zero 0
	.end_amdhsa_kernel
	.text
.Lfunc_end23:
	.size	_Z39comm_manual_aosoa_constants_direct_permPK15HIP_vector_typeIfLj2EEPS0_S2_, .Lfunc_end23-_Z39comm_manual_aosoa_constants_direct_permPK15HIP_vector_typeIfLj2EEPS0_S2_
                                        ; -- End function
	.set _Z39comm_manual_aosoa_constants_direct_permPK15HIP_vector_typeIfLj2EEPS0_S2_.num_vgpr, 47
	.set _Z39comm_manual_aosoa_constants_direct_permPK15HIP_vector_typeIfLj2EEPS0_S2_.num_agpr, 0
	.set _Z39comm_manual_aosoa_constants_direct_permPK15HIP_vector_typeIfLj2EEPS0_S2_.numbered_sgpr, 27
	.set _Z39comm_manual_aosoa_constants_direct_permPK15HIP_vector_typeIfLj2EEPS0_S2_.num_named_barrier, 0
	.set _Z39comm_manual_aosoa_constants_direct_permPK15HIP_vector_typeIfLj2EEPS0_S2_.private_seg_size, 0
	.set _Z39comm_manual_aosoa_constants_direct_permPK15HIP_vector_typeIfLj2EEPS0_S2_.uses_vcc, 1
	.set _Z39comm_manual_aosoa_constants_direct_permPK15HIP_vector_typeIfLj2EEPS0_S2_.uses_flat_scratch, 0
	.set _Z39comm_manual_aosoa_constants_direct_permPK15HIP_vector_typeIfLj2EEPS0_S2_.has_dyn_sized_stack, 0
	.set _Z39comm_manual_aosoa_constants_direct_permPK15HIP_vector_typeIfLj2EEPS0_S2_.has_recursion, 0
	.set _Z39comm_manual_aosoa_constants_direct_permPK15HIP_vector_typeIfLj2EEPS0_S2_.has_indirect_call, 0
	.section	.AMDGPU.csdata,"",@progbits
; Kernel info:
; codeLenInByte = 1060
; TotalNumSgprs: 31
; NumVgprs: 47
; ScratchSize: 0
; MemoryBound: 0
; FloatMode: 240
; IeeeMode: 1
; LDSByteSize: 0 bytes/workgroup (compile time only)
; SGPRBlocks: 3
; VGPRBlocks: 11
; NumSGPRsForWavesPerEU: 31
; NumVGPRsForWavesPerEU: 47
; Occupancy: 5
; WaveLimiterHint : 1
; COMPUTE_PGM_RSRC2:SCRATCH_EN: 0
; COMPUTE_PGM_RSRC2:USER_SGPR: 6
; COMPUTE_PGM_RSRC2:TRAP_HANDLER: 0
; COMPUTE_PGM_RSRC2:TGID_X_EN: 1
; COMPUTE_PGM_RSRC2:TGID_Y_EN: 0
; COMPUTE_PGM_RSRC2:TGID_Z_EN: 0
; COMPUTE_PGM_RSRC2:TIDIG_COMP_CNT: 0
	.text
	.protected	_Z16final_gpu_kernelPK15HIP_vector_typeIfLj2EEPS0_S2_i ; -- Begin function _Z16final_gpu_kernelPK15HIP_vector_typeIfLj2EEPS0_S2_i
	.globl	_Z16final_gpu_kernelPK15HIP_vector_typeIfLj2EEPS0_S2_i
	.p2align	8
	.type	_Z16final_gpu_kernelPK15HIP_vector_typeIfLj2EEPS0_S2_i,@function
_Z16final_gpu_kernelPK15HIP_vector_typeIfLj2EEPS0_S2_i: ; @_Z16final_gpu_kernelPK15HIP_vector_typeIfLj2EEPS0_S2_i
; %bb.0:
	v_cmp_gt_u32_e32 vcc, 49, v0
	v_cmp_eq_u32_e64 s[0:1], 0, v1
	s_and_b64 s[2:3], vcc, s[0:1]
	v_lshlrev_b32_e32 v2, 2, v0
	s_and_saveexec_b64 s[0:1], s[2:3]
	s_cbranch_execz .LBB24_2
; %bb.1:
	s_load_dwordx2 s[2:3], s[4:5], 0x10
	v_lshlrev_b32_e32 v3, 3, v0
	v_add_u32_e32 v5, 0x400, v2
	s_waitcnt lgkmcnt(0)
	global_load_dwordx2 v[3:4], v3, s[2:3]
	s_waitcnt vmcnt(0)
	ds_write2_b32 v5, v4, v3 offset0:136 offset1:188
.LBB24_2:
	s_or_b64 exec, exec, s[0:1]
	s_load_dword s2, s[4:5], 0x18
	v_lshlrev_b32_e32 v3, 4, v1
	v_lshl_add_u32 v14, s6, 5, v3
	s_waitcnt lgkmcnt(0)
	v_cmp_gt_i32_e64 s[0:1], s2, v14
	s_and_saveexec_b64 s[8:9], s[0:1]
	s_cbranch_execz .LBB24_9
; %bb.3:
	v_mul_u32_u24_e32 v3, 0x2493, v0
	v_mov_b32_e32 v4, 7
	v_mul_lo_u16_sdwa v3, v3, v4 dst_sel:DWORD dst_unused:UNUSED_PAD src0_sel:WORD_1 src1_sel:DWORD
	v_add_u32_e32 v4, 16, v14
	v_min_i32_e32 v15, s2, v4
	s_movk_i32 s0, 0xc4
	v_mov_b32_e32 v4, 0x310
	s_load_dwordx4 s[8:11], s[4:5], 0x0
	v_sub_u16_e32 v3, v0, v3
	v_mad_u32_u24 v4, v1, s0, v4
	v_add_u32_e32 v16, v4, v2
	v_mad_u32_u24 v17, v1, s0, v2
	v_sub_u32_e32 v2, v0, v3
	v_lshlrev_b32_e32 v3, 2, v3
	v_lshlrev_b32_e32 v2, 2, v2
	v_mad_u32_u24 v19, v1, s0, v3
	v_mad_u32_u24 v23, v1, s0, v2
	s_mulk_i32 s6, 0x620
	v_mul_u32_u24_e32 v1, 0x310, v1
	v_add_u32_e32 v18, v4, v3
	v_add_u32_e32 v20, 0x6f0, v2
	;; [unrolled: 1-line block ×6, first 2 shown]
	v_add3_u32 v0, v0, s6, v1
	s_mov_b64 s[2:3], 0
                                        ; implicit-def: $vgpr10
                                        ; implicit-def: $vgpr11
                                        ; implicit-def: $vgpr8
                                        ; implicit-def: $vgpr9
	s_branch .LBB24_5
.LBB24_4:                               ;   in Loop: Header=BB24_5 Depth=1
	s_or_b64 exec, exec, s[4:5]
	v_add_u32_e32 v14, 2, v14
	v_cmp_ge_i32_e64 s[0:1], v14, v15
	v_add_u32_e32 v0, 0x62, v0
	s_or_b64 s[2:3], s[0:1], s[2:3]
	v_mov_b32_e32 v10, v4
	v_mov_b32_e32 v8, v6
	;; [unrolled: 1-line block ×4, first 2 shown]
	s_andn2_b64 exec, exec, s[2:3]
	s_cbranch_execz .LBB24_9
.LBB24_5:                               ; =>This Inner Loop Header: Depth=1
	v_add_u32_e32 v2, 49, v0
	v_ashrrev_i32_e32 v1, 31, v0
	v_ashrrev_i32_e32 v3, 31, v2
	v_mov_b32_e32 v5, v11
	v_mov_b32_e32 v7, v9
	v_mov_b32_e32 v4, v10
	v_mov_b32_e32 v6, v8
	s_waitcnt vmcnt(0) lgkmcnt(0)
	s_barrier
	s_and_saveexec_b64 s[4:5], vcc
	s_cbranch_execz .LBB24_7
; %bb.6:                                ;   in Loop: Header=BB24_5 Depth=1
	v_lshlrev_b64 v[4:5], 3, v[0:1]
	v_mov_b32_e32 v7, s9
	v_add_co_u32_e64 v6, s[0:1], s8, v4
	v_lshlrev_b64 v[8:9], 3, v[2:3]
	v_addc_co_u32_e64 v7, s[0:1], v7, v5, s[0:1]
	v_mov_b32_e32 v11, s9
	v_add_co_u32_e64 v10, s[0:1], s8, v8
	v_addc_co_u32_e64 v11, s[0:1], v11, v9, s[0:1]
	global_load_dwordx2 v[12:13], v[6:7], off
	global_load_dwordx2 v[26:27], v[10:11], off
	v_mov_b32_e32 v6, s11
	v_add_co_u32_e64 v10, s[0:1], s10, v4
	v_addc_co_u32_e64 v11, s[0:1], v6, v5, s[0:1]
	v_mov_b32_e32 v4, s11
	v_add_co_u32_e64 v8, s[0:1], s10, v8
	v_addc_co_u32_e64 v9, s[0:1], v4, v9, s[0:1]
	global_load_dwordx2 v[4:5], v[10:11], off
	global_load_dwordx2 v[6:7], v[8:9], off
	s_waitcnt vmcnt(2)
	ds_write2_b32 v16, v12, v26 offset1:98
	ds_write2_b32 v17, v13, v27 offset1:98
	s_waitcnt vmcnt(1)
	v_mov_b32_e32 v10, v4
	s_waitcnt vmcnt(0)
	v_mov_b32_e32 v8, v6
	v_mov_b32_e32 v11, v5
	;; [unrolled: 1-line block ×3, first 2 shown]
.LBB24_7:                               ;   in Loop: Header=BB24_5 Depth=1
	s_or_b64 exec, exec, s[4:5]
	s_waitcnt lgkmcnt(0)
	s_barrier
	s_and_saveexec_b64 s[4:5], vcc
	s_cbranch_execz .LBB24_4
; %bb.8:                                ;   in Loop: Header=BB24_5 Depth=1
	ds_read2_b32 v[12:13], v20 offset1:1
	ds_read2_b32 v[26:27], v19 offset1:7
	;; [unrolled: 1-line block ×6, first 2 shown]
	s_waitcnt lgkmcnt(4)
	v_fma_f32 v6, v26, v12, v10
	s_waitcnt lgkmcnt(2)
	v_fmac_f32_e32 v6, v4, v28
	v_fma_f32 v4, -v4, v12, v11
	ds_read2_b32 v[10:11], v22 offset1:1
	ds_read2_b32 v[34:35], v25 offset1:7
	v_fmac_f32_e32 v4, v26, v28
	s_waitcnt lgkmcnt(2)
	v_fma_f32 v26, -v30, v32, v6
	ds_read2_b32 v[6:7], v18 offset0:42 offset1:98
	s_waitcnt lgkmcnt(2)
	v_fmac_f32_e32 v4, v10, v32
	s_waitcnt lgkmcnt(1)
	v_fmac_f32_e32 v26, v10, v34
	v_fma_f32 v4, -v30, v34, v4
	v_fmac_f32_e32 v26, v27, v13
	v_fmac_f32_e32 v26, v5, v29
	v_fma_f32 v30, -v5, v13, v4
	ds_read2_b32 v[4:5], v19 offset0:42 offset1:98
	ds_read2_b32 v[36:37], v23 offset0:98 offset1:99
	;; [unrolled: 1-line block ×3, first 2 shown]
	v_fmac_f32_e32 v30, v27, v29
	v_fmac_f32_e32 v30, v11, v33
	s_waitcnt lgkmcnt(2)
	v_fmac_f32_e32 v8, v5, v12
	v_fmac_f32_e32 v8, v7, v28
	v_fma_f32 v7, -v7, v12, v9
	v_fmac_f32_e32 v7, v5, v28
	s_waitcnt lgkmcnt(0)
	v_fmac_f32_e32 v7, v38, v32
	ds_read2_b32 v[9:10], v18 offset0:105 offset1:112
	v_fma_f32 v5, -v36, v32, v8
	v_fma_f32 v12, -v36, v34, v7
	ds_read2_b32 v[7:8], v19 offset0:105 offset1:112
	v_fmac_f32_e32 v5, v38, v34
	s_waitcnt lgkmcnt(1)
	v_fma_f32 v12, -v9, v13, v12
	s_waitcnt lgkmcnt(0)
	v_fmac_f32_e32 v12, v7, v29
	v_fmac_f32_e32 v5, v7, v13
	;; [unrolled: 1-line block ×3, first 2 shown]
	v_fma_f32 v7, -v31, v33, v26
	v_fmac_f32_e32 v5, v9, v29
	v_fmac_f32_e32 v7, v11, v35
	v_fma_f32 v13, -v37, v35, v12
	v_fma_f32 v9, -v31, v35, v30
	ds_read2_b32 v[11:12], v20 offset0:2 offset1:3
	ds_read2_b32 v[26:27], v21 offset0:2 offset1:3
	;; [unrolled: 1-line block ×4, first 2 shown]
	v_fma_f32 v5, -v37, v33, v5
	v_fmac_f32_e32 v5, v39, v35
	s_waitcnt lgkmcnt(3)
	v_fmac_f32_e32 v5, v8, v11
	v_fma_f32 v13, -v10, v11, v13
	s_waitcnt lgkmcnt(2)
	v_fmac_f32_e32 v5, v10, v26
	v_fmac_f32_e32 v13, v8, v26
	s_waitcnt lgkmcnt(1)
	v_fmac_f32_e32 v7, v28, v11
	s_waitcnt lgkmcnt(0)
	v_fma_f32 v8, -v30, v11, v9
	ds_read2_b32 v[10:11], v24 offset0:14 offset1:21
	ds_read2_b32 v[32:33], v23 offset0:2 offset1:3
	;; [unrolled: 1-line block ×4, first 2 shown]
	v_fmac_f32_e32 v7, v30, v26
	v_fmac_f32_e32 v8, v28, v26
	ds_read2_b32 v[38:39], v22 offset0:100 offset1:101
	s_waitcnt lgkmcnt(3)
	v_fma_f32 v26, -v32, v10, v7
	s_waitcnt lgkmcnt(1)
	v_fmac_f32_e32 v26, v36, v34
	v_fmac_f32_e32 v8, v36, v10
	v_fma_f32 v7, -v32, v34, v8
	v_fmac_f32_e32 v26, v29, v12
	v_fmac_f32_e32 v26, v31, v27
	v_fma_f32 v28, -v31, v12, v7
	ds_read2_b32 v[30:31], v23 offset0:100 offset1:101
	s_waitcnt lgkmcnt(1)
	v_fmac_f32_e32 v13, v38, v10
	ds_read2_b32 v[7:8], v19 offset0:119 offset1:126
	v_fmac_f32_e32 v28, v29, v27
	v_fmac_f32_e32 v28, v37, v11
	s_waitcnt lgkmcnt(1)
	v_fma_f32 v5, -v30, v10, v5
	ds_read2_b32 v[9:10], v18 offset0:119 offset1:126
	v_fmac_f32_e32 v5, v38, v34
	v_fma_f32 v13, -v30, v34, v13
	s_waitcnt lgkmcnt(1)
	v_fmac_f32_e32 v5, v7, v12
	s_waitcnt lgkmcnt(0)
	v_fma_f32 v12, -v9, v12, v13
	v_fmac_f32_e32 v5, v9, v27
	v_fmac_f32_e32 v12, v7, v27
	v_fma_f32 v7, -v33, v11, v26
	v_fma_f32 v9, -v33, v35, v28
	ds_read2_b32 v[26:27], v20 offset0:4 offset1:5
	ds_read2_b32 v[28:29], v21 offset0:4 offset1:5
	v_fma_f32 v5, -v31, v11, v5
	v_fmac_f32_e32 v12, v39, v11
	v_fmac_f32_e32 v5, v39, v35
	v_fma_f32 v11, -v31, v35, v12
	ds_read2_b32 v[30:31], v19 offset0:28 offset1:35
	s_waitcnt lgkmcnt(2)
	v_fmac_f32_e32 v5, v8, v26
	ds_read2_b32 v[32:33], v18 offset0:28 offset1:35
	v_fmac_f32_e32 v7, v37, v35
	s_waitcnt lgkmcnt(2)
	v_fmac_f32_e32 v5, v10, v28
	v_fma_f32 v40, -v10, v26, v11
	ds_read2_b32 v[10:11], v23 offset0:4 offset1:5
	ds_read2_b32 v[34:35], v24 offset0:28 offset1:35
	;; [unrolled: 1-line block ×4, first 2 shown]
	s_waitcnt lgkmcnt(5)
	v_fmac_f32_e32 v7, v30, v26
	v_fmac_f32_e32 v40, v8, v28
	s_waitcnt lgkmcnt(4)
	v_fmac_f32_e32 v7, v32, v28
	v_fma_f32 v8, -v32, v26, v9
	v_fmac_f32_e32 v8, v30, v28
	s_waitcnt lgkmcnt(2)
	v_fma_f32 v28, -v10, v34, v7
	s_waitcnt lgkmcnt(0)
	v_fmac_f32_e32 v28, v36, v12
	v_fmac_f32_e32 v8, v36, v34
	v_fma_f32 v7, -v10, v12, v8
	v_fmac_f32_e32 v28, v31, v27
	v_fmac_f32_e32 v28, v33, v29
	v_fma_f32 v26, -v33, v27, v7
	ds_read2_b32 v[32:33], v23 offset0:102 offset1:103
	ds_read2_b32 v[38:39], v22 offset0:102 offset1:103
	;; [unrolled: 1-line block ×4, first 2 shown]
	v_fmac_f32_e32 v26, v31, v29
	s_waitcnt lgkmcnt(3)
	v_fma_f32 v5, -v32, v34, v5
	s_waitcnt lgkmcnt(2)
	v_fmac_f32_e32 v40, v38, v34
	v_fmac_f32_e32 v5, v38, v12
	v_fma_f32 v12, -v32, v12, v40
	s_waitcnt lgkmcnt(1)
	v_fma_f32 v12, -v9, v27, v12
	s_waitcnt lgkmcnt(0)
	v_fmac_f32_e32 v5, v7, v27
	v_fmac_f32_e32 v12, v7, v29
	;; [unrolled: 1-line block ×4, first 2 shown]
	v_fma_f32 v5, -v33, v35, v5
	v_fma_f32 v7, -v11, v35, v28
	v_fmac_f32_e32 v26, v37, v35
	v_fma_f32 v9, -v33, v13, v12
	ds_read_b32 v12, v20 offset:24
	v_fmac_f32_e32 v5, v39, v13
	v_fmac_f32_e32 v7, v37, v13
	v_fma_f32 v13, -v11, v13, v26
	ds_read_b32 v11, v21 offset:24
	s_waitcnt lgkmcnt(1)
	v_fmac_f32_e32 v5, v8, v12
	v_fmac_f32_e32 v7, v4, v12
	v_fma_f32 v26, -v6, v12, v13
	v_fma_f32 v27, -v10, v12, v9
	s_waitcnt lgkmcnt(0)
	v_fmac_f32_e32 v5, v10, v11
	ds_read2_b32 v[9:10], v23 offset0:6 offset1:104
	ds_read_b32 v28, v24 offset:168
	ds_read2_b32 v[12:13], v22 offset0:6 offset1:104
	ds_read_b32 v29, v25 offset:168
	v_fmac_f32_e32 v26, v4, v11
	v_fmac_f32_e32 v7, v6, v11
	;; [unrolled: 1-line block ×3, first 2 shown]
	s_waitcnt lgkmcnt(1)
	v_fmac_f32_e32 v26, v12, v28
	v_fma_f32 v4, -v9, v28, v7
	v_fma_f32 v6, -v10, v28, v5
	s_waitcnt lgkmcnt(0)
	v_fma_f32 v5, -v9, v29, v26
	v_lshlrev_b64 v[8:9], 3, v[0:1]
	v_mov_b32_e32 v1, s11
	v_add_co_u32_e64 v8, s[0:1], s10, v8
	v_addc_co_u32_e64 v9, s[0:1], v1, v9, s[0:1]
	v_lshlrev_b64 v[1:2], 3, v[2:3]
	v_fmac_f32_e32 v27, v13, v28
	v_add_co_u32_e64 v1, s[0:1], s10, v1
	v_mov_b32_e32 v3, s11
	v_fmac_f32_e32 v6, v13, v29
	v_fmac_f32_e32 v4, v12, v29
	v_fma_f32 v7, -v10, v29, v27
	v_addc_co_u32_e64 v2, s[0:1], v3, v2, s[0:1]
	global_store_dwordx2 v[8:9], v[4:5], off
	global_store_dwordx2 v[1:2], v[6:7], off
	s_branch .LBB24_4
.LBB24_9:
	s_endpgm
	.section	.rodata,"a",@progbits
	.p2align	6, 0x0
	.amdhsa_kernel _Z16final_gpu_kernelPK15HIP_vector_typeIfLj2EEPS0_S2_i
		.amdhsa_group_segment_fixed_size 1972
		.amdhsa_private_segment_fixed_size 0
		.amdhsa_kernarg_size 28
		.amdhsa_user_sgpr_count 6
		.amdhsa_user_sgpr_private_segment_buffer 1
		.amdhsa_user_sgpr_dispatch_ptr 0
		.amdhsa_user_sgpr_queue_ptr 0
		.amdhsa_user_sgpr_kernarg_segment_ptr 1
		.amdhsa_user_sgpr_dispatch_id 0
		.amdhsa_user_sgpr_flat_scratch_init 0
		.amdhsa_user_sgpr_private_segment_size 0
		.amdhsa_uses_dynamic_stack 0
		.amdhsa_system_sgpr_private_segment_wavefront_offset 0
		.amdhsa_system_sgpr_workgroup_id_x 1
		.amdhsa_system_sgpr_workgroup_id_y 0
		.amdhsa_system_sgpr_workgroup_id_z 0
		.amdhsa_system_sgpr_workgroup_info 0
		.amdhsa_system_vgpr_workitem_id 1
		.amdhsa_next_free_vgpr 41
		.amdhsa_next_free_sgpr 61
		.amdhsa_reserve_vcc 1
		.amdhsa_reserve_flat_scratch 0
		.amdhsa_float_round_mode_32 0
		.amdhsa_float_round_mode_16_64 0
		.amdhsa_float_denorm_mode_32 3
		.amdhsa_float_denorm_mode_16_64 3
		.amdhsa_dx10_clamp 1
		.amdhsa_ieee_mode 1
		.amdhsa_fp16_overflow 0
		.amdhsa_exception_fp_ieee_invalid_op 0
		.amdhsa_exception_fp_denorm_src 0
		.amdhsa_exception_fp_ieee_div_zero 0
		.amdhsa_exception_fp_ieee_overflow 0
		.amdhsa_exception_fp_ieee_underflow 0
		.amdhsa_exception_fp_ieee_inexact 0
		.amdhsa_exception_int_div_zero 0
	.end_amdhsa_kernel
	.text
.Lfunc_end24:
	.size	_Z16final_gpu_kernelPK15HIP_vector_typeIfLj2EEPS0_S2_i, .Lfunc_end24-_Z16final_gpu_kernelPK15HIP_vector_typeIfLj2EEPS0_S2_i
                                        ; -- End function
	.set _Z16final_gpu_kernelPK15HIP_vector_typeIfLj2EEPS0_S2_i.num_vgpr, 41
	.set _Z16final_gpu_kernelPK15HIP_vector_typeIfLj2EEPS0_S2_i.num_agpr, 0
	.set _Z16final_gpu_kernelPK15HIP_vector_typeIfLj2EEPS0_S2_i.numbered_sgpr, 12
	.set _Z16final_gpu_kernelPK15HIP_vector_typeIfLj2EEPS0_S2_i.num_named_barrier, 0
	.set _Z16final_gpu_kernelPK15HIP_vector_typeIfLj2EEPS0_S2_i.private_seg_size, 0
	.set _Z16final_gpu_kernelPK15HIP_vector_typeIfLj2EEPS0_S2_i.uses_vcc, 1
	.set _Z16final_gpu_kernelPK15HIP_vector_typeIfLj2EEPS0_S2_i.uses_flat_scratch, 0
	.set _Z16final_gpu_kernelPK15HIP_vector_typeIfLj2EEPS0_S2_i.has_dyn_sized_stack, 0
	.set _Z16final_gpu_kernelPK15HIP_vector_typeIfLj2EEPS0_S2_i.has_recursion, 0
	.set _Z16final_gpu_kernelPK15HIP_vector_typeIfLj2EEPS0_S2_i.has_indirect_call, 0
	.section	.AMDGPU.csdata,"",@progbits
; Kernel info:
; codeLenInByte = 1756
; TotalNumSgprs: 16
; NumVgprs: 41
; ScratchSize: 0
; MemoryBound: 0
; FloatMode: 240
; IeeeMode: 1
; LDSByteSize: 1972 bytes/workgroup (compile time only)
; SGPRBlocks: 8
; VGPRBlocks: 10
; NumSGPRsForWavesPerEU: 65
; NumVGPRsForWavesPerEU: 41
; Occupancy: 5
; WaveLimiterHint : 0
; COMPUTE_PGM_RSRC2:SCRATCH_EN: 0
; COMPUTE_PGM_RSRC2:USER_SGPR: 6
; COMPUTE_PGM_RSRC2:TRAP_HANDLER: 0
; COMPUTE_PGM_RSRC2:TGID_X_EN: 1
; COMPUTE_PGM_RSRC2:TGID_Y_EN: 0
; COMPUTE_PGM_RSRC2:TGID_Z_EN: 0
; COMPUTE_PGM_RSRC2:TIDIG_COMP_CNT: 1
	.section	.AMDGPU.gpr_maximums,"",@progbits
	.set amdgpu.max_num_vgpr, 0
	.set amdgpu.max_num_agpr, 0
	.set amdgpu.max_num_sgpr, 0
	.section	.AMDGPU.csdata,"",@progbits
	.type	__hip_cuid_523d4ad4b00fe24b,@object ; @__hip_cuid_523d4ad4b00fe24b
	.section	.bss,"aw",@nobits
	.globl	__hip_cuid_523d4ad4b00fe24b
__hip_cuid_523d4ad4b00fe24b:
	.byte	0                               ; 0x0
	.size	__hip_cuid_523d4ad4b00fe24b, 1

	.ident	"AMD clang version 22.0.0git (https://github.com/RadeonOpenCompute/llvm-project roc-7.2.4 26084 f58b06dce1f9c15707c5f808fd002e18c2accf7e)"
	.section	".note.GNU-stack","",@progbits
	.addrsig
	.addrsig_sym __hip_cuid_523d4ad4b00fe24b
	.amdgpu_metadata
---
amdhsa.kernels:
  - .args:
      - .actual_access:  read_only
        .address_space:  global
        .offset:         0
        .size:           8
        .value_kind:     global_buffer
      - .actual_access:  read_only
        .address_space:  global
        .offset:         8
        .size:           8
        .value_kind:     global_buffer
      - .actual_access:  read_only
        .address_space:  global
        .offset:         16
        .size:           8
        .value_kind:     global_buffer
    .group_segment_fixed_size: 0
    .kernarg_segment_align: 8
    .kernarg_segment_size: 24
    .language:       OpenCL C
    .language_version:
      - 2
      - 0
    .max_flat_workgroup_size: 1024
    .name:           _Z10comm_emptyP15HIP_vector_typeIfLj2EES1_S1_
    .private_segment_fixed_size: 0
    .sgpr_count:     4
    .sgpr_spill_count: 0
    .symbol:         _Z10comm_emptyP15HIP_vector_typeIfLj2EES1_S1_.kd
    .uniform_work_group_size: 1
    .uses_dynamic_stack: false
    .vgpr_count:     0
    .vgpr_spill_count: 0
    .wavefront_size: 64
  - .args:
      - .actual_access:  read_only
        .address_space:  global
        .offset:         0
        .size:           8
        .value_kind:     global_buffer
      - .address_space:  global
        .offset:         8
        .size:           8
        .value_kind:     global_buffer
      - .actual_access:  read_only
        .address_space:  global
        .offset:         16
        .size:           8
        .value_kind:     global_buffer
      - .offset:         24
        .size:           4
        .value_kind:     by_value
      - .offset:         32
        .size:           4
        .value_kind:     hidden_block_count_x
      - .offset:         36
        .size:           4
        .value_kind:     hidden_block_count_y
      - .offset:         40
        .size:           4
        .value_kind:     hidden_block_count_z
      - .offset:         44
        .size:           2
        .value_kind:     hidden_group_size_x
      - .offset:         46
        .size:           2
        .value_kind:     hidden_group_size_y
      - .offset:         48
        .size:           2
        .value_kind:     hidden_group_size_z
      - .offset:         50
        .size:           2
        .value_kind:     hidden_remainder_x
      - .offset:         52
        .size:           2
        .value_kind:     hidden_remainder_y
      - .offset:         54
        .size:           2
        .value_kind:     hidden_remainder_z
      - .offset:         72
        .size:           8
        .value_kind:     hidden_global_offset_x
      - .offset:         80
        .size:           8
        .value_kind:     hidden_global_offset_y
      - .offset:         88
        .size:           8
        .value_kind:     hidden_global_offset_z
      - .offset:         96
        .size:           2
        .value_kind:     hidden_grid_dims
    .group_segment_fixed_size: 0
    .kernarg_segment_align: 8
    .kernarg_segment_size: 288
    .language:       OpenCL C
    .language_version:
      - 2
      - 0
    .max_flat_workgroup_size: 1024
    .name:           _Z9comm_initPK15HIP_vector_typeIfLj2EEPS0_S2_i
    .private_segment_fixed_size: 0
    .sgpr_count:     28
    .sgpr_spill_count: 0
    .symbol:         _Z9comm_initPK15HIP_vector_typeIfLj2EEPS0_S2_i.kd
    .uniform_work_group_size: 1
    .uses_dynamic_stack: false
    .vgpr_count:     19
    .vgpr_spill_count: 0
    .wavefront_size: 64
  - .args:
      - .actual_access:  read_only
        .address_space:  global
        .offset:         0
        .size:           8
        .value_kind:     global_buffer
      - .address_space:  global
        .offset:         8
        .size:           8
        .value_kind:     global_buffer
      - .actual_access:  read_only
        .address_space:  global
        .offset:         16
        .size:           8
        .value_kind:     global_buffer
      - .offset:         24
        .size:           4
        .value_kind:     by_value
      - .offset:         32
        .size:           4
        .value_kind:     hidden_block_count_x
      - .offset:         36
        .size:           4
        .value_kind:     hidden_block_count_y
      - .offset:         40
        .size:           4
        .value_kind:     hidden_block_count_z
      - .offset:         44
        .size:           2
        .value_kind:     hidden_group_size_x
      - .offset:         46
        .size:           2
        .value_kind:     hidden_group_size_y
      - .offset:         48
        .size:           2
        .value_kind:     hidden_group_size_z
      - .offset:         50
        .size:           2
        .value_kind:     hidden_remainder_x
      - .offset:         52
        .size:           2
        .value_kind:     hidden_remainder_y
      - .offset:         54
        .size:           2
        .value_kind:     hidden_remainder_z
      - .offset:         72
        .size:           8
        .value_kind:     hidden_global_offset_x
      - .offset:         80
        .size:           8
        .value_kind:     hidden_global_offset_y
      - .offset:         88
        .size:           8
        .value_kind:     hidden_global_offset_z
      - .offset:         96
        .size:           2
        .value_kind:     hidden_grid_dims
    .group_segment_fixed_size: 0
    .kernarg_segment_align: 8
    .kernarg_segment_size: 288
    .language:       OpenCL C
    .language_version:
      - 2
      - 0
    .max_flat_workgroup_size: 1024
    .name:           _Z13comm_refactorPK15HIP_vector_typeIfLj2EEPS0_S2_i
    .private_segment_fixed_size: 0
    .sgpr_count:     40
    .sgpr_spill_count: 0
    .symbol:         _Z13comm_refactorPK15HIP_vector_typeIfLj2EEPS0_S2_i.kd
    .uniform_work_group_size: 1
    .uses_dynamic_stack: false
    .vgpr_count:     20
    .vgpr_spill_count: 0
    .wavefront_size: 64
  - .args:
      - .actual_access:  read_only
        .address_space:  global
        .offset:         0
        .size:           8
        .value_kind:     global_buffer
      - .address_space:  global
        .offset:         8
        .size:           8
        .value_kind:     global_buffer
      - .actual_access:  read_only
        .address_space:  global
        .offset:         16
        .size:           8
        .value_kind:     global_buffer
      - .offset:         24
        .size:           4
        .value_kind:     by_value
      - .offset:         32
        .size:           4
        .value_kind:     hidden_block_count_x
      - .offset:         36
        .size:           4
        .value_kind:     hidden_block_count_y
      - .offset:         40
        .size:           4
        .value_kind:     hidden_block_count_z
      - .offset:         44
        .size:           2
        .value_kind:     hidden_group_size_x
      - .offset:         46
        .size:           2
        .value_kind:     hidden_group_size_y
      - .offset:         48
        .size:           2
        .value_kind:     hidden_group_size_z
      - .offset:         50
        .size:           2
        .value_kind:     hidden_remainder_x
      - .offset:         52
        .size:           2
        .value_kind:     hidden_remainder_y
      - .offset:         54
        .size:           2
        .value_kind:     hidden_remainder_z
      - .offset:         72
        .size:           8
        .value_kind:     hidden_global_offset_x
      - .offset:         80
        .size:           8
        .value_kind:     hidden_global_offset_y
      - .offset:         88
        .size:           8
        .value_kind:     hidden_global_offset_z
      - .offset:         96
        .size:           2
        .value_kind:     hidden_grid_dims
    .group_segment_fixed_size: 0
    .kernarg_segment_align: 8
    .kernarg_segment_size: 288
    .language:       OpenCL C
    .language_version:
      - 2
      - 0
    .max_flat_workgroup_size: 1024
    .name:           _Z26comm_refactor_direct_storePK15HIP_vector_typeIfLj2EEPS0_S2_i
    .private_segment_fixed_size: 0
    .sgpr_count:     38
    .sgpr_spill_count: 0
    .symbol:         _Z26comm_refactor_direct_storePK15HIP_vector_typeIfLj2EEPS0_S2_i.kd
    .uniform_work_group_size: 1
    .uses_dynamic_stack: false
    .vgpr_count:     23
    .vgpr_spill_count: 0
    .wavefront_size: 64
  - .args:
      - .actual_access:  read_only
        .address_space:  global
        .offset:         0
        .size:           8
        .value_kind:     global_buffer
      - .address_space:  global
        .offset:         8
        .size:           8
        .value_kind:     global_buffer
      - .actual_access:  read_only
        .address_space:  global
        .offset:         16
        .size:           8
        .value_kind:     global_buffer
      - .offset:         24
        .size:           4
        .value_kind:     by_value
      - .offset:         32
        .size:           4
        .value_kind:     hidden_block_count_x
      - .offset:         36
        .size:           4
        .value_kind:     hidden_block_count_y
      - .offset:         40
        .size:           4
        .value_kind:     hidden_block_count_z
      - .offset:         44
        .size:           2
        .value_kind:     hidden_group_size_x
      - .offset:         46
        .size:           2
        .value_kind:     hidden_group_size_y
      - .offset:         48
        .size:           2
        .value_kind:     hidden_group_size_z
      - .offset:         50
        .size:           2
        .value_kind:     hidden_remainder_x
      - .offset:         52
        .size:           2
        .value_kind:     hidden_remainder_y
      - .offset:         54
        .size:           2
        .value_kind:     hidden_remainder_z
      - .offset:         72
        .size:           8
        .value_kind:     hidden_global_offset_x
      - .offset:         80
        .size:           8
        .value_kind:     hidden_global_offset_y
      - .offset:         88
        .size:           8
        .value_kind:     hidden_global_offset_z
      - .offset:         96
        .size:           2
        .value_kind:     hidden_grid_dims
    .group_segment_fixed_size: 0
    .kernarg_segment_align: 8
    .kernarg_segment_size: 288
    .language:       OpenCL C
    .language_version:
      - 2
      - 0
    .max_flat_workgroup_size: 1024
    .name:           _Z16comm_aosoa_naivePK15HIP_vector_typeIfLj2EEPS0_S2_i
    .private_segment_fixed_size: 0
    .sgpr_count:     36
    .sgpr_spill_count: 0
    .symbol:         _Z16comm_aosoa_naivePK15HIP_vector_typeIfLj2EEPS0_S2_i.kd
    .uniform_work_group_size: 1
    .uses_dynamic_stack: false
    .vgpr_count:     22
    .vgpr_spill_count: 0
    .wavefront_size: 64
  - .args:
      - .actual_access:  read_only
        .address_space:  global
        .offset:         0
        .size:           8
        .value_kind:     global_buffer
      - .address_space:  global
        .offset:         8
        .size:           8
        .value_kind:     global_buffer
      - .actual_access:  read_only
        .address_space:  global
        .offset:         16
        .size:           8
        .value_kind:     global_buffer
      - .offset:         24
        .size:           4
        .value_kind:     by_value
      - .offset:         32
        .size:           4
        .value_kind:     hidden_block_count_x
      - .offset:         36
        .size:           4
        .value_kind:     hidden_block_count_y
      - .offset:         40
        .size:           4
        .value_kind:     hidden_block_count_z
      - .offset:         44
        .size:           2
        .value_kind:     hidden_group_size_x
      - .offset:         46
        .size:           2
        .value_kind:     hidden_group_size_y
      - .offset:         48
        .size:           2
        .value_kind:     hidden_group_size_z
      - .offset:         50
        .size:           2
        .value_kind:     hidden_remainder_x
      - .offset:         52
        .size:           2
        .value_kind:     hidden_remainder_y
      - .offset:         54
        .size:           2
        .value_kind:     hidden_remainder_z
      - .offset:         72
        .size:           8
        .value_kind:     hidden_global_offset_x
      - .offset:         80
        .size:           8
        .value_kind:     hidden_global_offset_y
      - .offset:         88
        .size:           8
        .value_kind:     hidden_global_offset_z
      - .offset:         96
        .size:           2
        .value_kind:     hidden_grid_dims
    .group_segment_fixed_size: 0
    .kernarg_segment_align: 8
    .kernarg_segment_size: 288
    .language:       OpenCL C
    .language_version:
      - 2
      - 0
    .max_flat_workgroup_size: 1024
    .name:           _Z26comm_aosoa_naive_constantsPK15HIP_vector_typeIfLj2EEPS0_S2_i
    .private_segment_fixed_size: 0
    .sgpr_count:     34
    .sgpr_spill_count: 0
    .symbol:         _Z26comm_aosoa_naive_constantsPK15HIP_vector_typeIfLj2EEPS0_S2_i.kd
    .uniform_work_group_size: 1
    .uses_dynamic_stack: false
    .vgpr_count:     32
    .vgpr_spill_count: 0
    .wavefront_size: 64
  - .args:
      - .actual_access:  read_only
        .address_space:  global
        .offset:         0
        .size:           8
        .value_kind:     global_buffer
      - .address_space:  global
        .offset:         8
        .size:           8
        .value_kind:     global_buffer
      - .actual_access:  read_only
        .address_space:  global
        .offset:         16
        .size:           8
        .value_kind:     global_buffer
      - .offset:         24
        .size:           4
        .value_kind:     hidden_block_count_x
      - .offset:         28
        .size:           4
        .value_kind:     hidden_block_count_y
      - .offset:         32
        .size:           4
        .value_kind:     hidden_block_count_z
      - .offset:         36
        .size:           2
        .value_kind:     hidden_group_size_x
      - .offset:         38
        .size:           2
        .value_kind:     hidden_group_size_y
      - .offset:         40
        .size:           2
        .value_kind:     hidden_group_size_z
      - .offset:         42
        .size:           2
        .value_kind:     hidden_remainder_x
      - .offset:         44
        .size:           2
        .value_kind:     hidden_remainder_y
      - .offset:         46
        .size:           2
        .value_kind:     hidden_remainder_z
      - .offset:         64
        .size:           8
        .value_kind:     hidden_global_offset_x
      - .offset:         72
        .size:           8
        .value_kind:     hidden_global_offset_y
      - .offset:         80
        .size:           8
        .value_kind:     hidden_global_offset_z
      - .offset:         88
        .size:           2
        .value_kind:     hidden_grid_dims
    .group_segment_fixed_size: 0
    .kernarg_segment_align: 8
    .kernarg_segment_size: 280
    .language:       OpenCL C
    .language_version:
      - 2
      - 0
    .max_flat_workgroup_size: 1024
    .name:           _Z31comm_aosoa_naive_constants_permPK15HIP_vector_typeIfLj2EEPS0_S2_
    .private_segment_fixed_size: 0
    .sgpr_count:     34
    .sgpr_spill_count: 0
    .symbol:         _Z31comm_aosoa_naive_constants_permPK15HIP_vector_typeIfLj2EEPS0_S2_.kd
    .uniform_work_group_size: 1
    .uses_dynamic_stack: false
    .vgpr_count:     46
    .vgpr_spill_count: 0
    .wavefront_size: 64
  - .args:
      - .actual_access:  read_only
        .address_space:  global
        .offset:         0
        .size:           8
        .value_kind:     global_buffer
      - .address_space:  global
        .offset:         8
        .size:           8
        .value_kind:     global_buffer
      - .actual_access:  read_only
        .address_space:  global
        .offset:         16
        .size:           8
        .value_kind:     global_buffer
      - .offset:         24
        .size:           4
        .value_kind:     by_value
      - .offset:         32
        .size:           4
        .value_kind:     hidden_block_count_x
      - .offset:         36
        .size:           4
        .value_kind:     hidden_block_count_y
      - .offset:         40
        .size:           4
        .value_kind:     hidden_block_count_z
      - .offset:         44
        .size:           2
        .value_kind:     hidden_group_size_x
      - .offset:         46
        .size:           2
        .value_kind:     hidden_group_size_y
      - .offset:         48
        .size:           2
        .value_kind:     hidden_group_size_z
      - .offset:         50
        .size:           2
        .value_kind:     hidden_remainder_x
      - .offset:         52
        .size:           2
        .value_kind:     hidden_remainder_y
      - .offset:         54
        .size:           2
        .value_kind:     hidden_remainder_z
      - .offset:         72
        .size:           8
        .value_kind:     hidden_global_offset_x
      - .offset:         80
        .size:           8
        .value_kind:     hidden_global_offset_y
      - .offset:         88
        .size:           8
        .value_kind:     hidden_global_offset_z
      - .offset:         96
        .size:           2
        .value_kind:     hidden_grid_dims
    .group_segment_fixed_size: 0
    .kernarg_segment_align: 8
    .kernarg_segment_size: 288
    .language:       OpenCL C
    .language_version:
      - 2
      - 0
    .max_flat_workgroup_size: 1024
    .name:           _Z23comm_aosoa_naive_directPK15HIP_vector_typeIfLj2EEPS0_S2_i
    .private_segment_fixed_size: 0
    .sgpr_count:     35
    .sgpr_spill_count: 0
    .symbol:         _Z23comm_aosoa_naive_directPK15HIP_vector_typeIfLj2EEPS0_S2_i.kd
    .uniform_work_group_size: 1
    .uses_dynamic_stack: false
    .vgpr_count:     23
    .vgpr_spill_count: 0
    .wavefront_size: 64
  - .args:
      - .actual_access:  read_only
        .address_space:  global
        .offset:         0
        .size:           8
        .value_kind:     global_buffer
      - .address_space:  global
        .offset:         8
        .size:           8
        .value_kind:     global_buffer
      - .actual_access:  read_only
        .address_space:  global
        .offset:         16
        .size:           8
        .value_kind:     global_buffer
      - .offset:         24
        .size:           4
        .value_kind:     hidden_block_count_x
      - .offset:         28
        .size:           4
        .value_kind:     hidden_block_count_y
      - .offset:         32
        .size:           4
        .value_kind:     hidden_block_count_z
      - .offset:         36
        .size:           2
        .value_kind:     hidden_group_size_x
      - .offset:         38
        .size:           2
        .value_kind:     hidden_group_size_y
      - .offset:         40
        .size:           2
        .value_kind:     hidden_group_size_z
      - .offset:         42
        .size:           2
        .value_kind:     hidden_remainder_x
      - .offset:         44
        .size:           2
        .value_kind:     hidden_remainder_y
      - .offset:         46
        .size:           2
        .value_kind:     hidden_remainder_z
      - .offset:         64
        .size:           8
        .value_kind:     hidden_global_offset_x
      - .offset:         72
        .size:           8
        .value_kind:     hidden_global_offset_y
      - .offset:         80
        .size:           8
        .value_kind:     hidden_global_offset_z
      - .offset:         88
        .size:           2
        .value_kind:     hidden_grid_dims
    .group_segment_fixed_size: 0
    .kernarg_segment_align: 8
    .kernarg_segment_size: 280
    .language:       OpenCL C
    .language_version:
      - 2
      - 0
    .max_flat_workgroup_size: 1024
    .name:           _Z33comm_aosoa_naive_constants_directPK15HIP_vector_typeIfLj2EEPS0_S2_
    .private_segment_fixed_size: 0
    .sgpr_count:     34
    .sgpr_spill_count: 0
    .symbol:         _Z33comm_aosoa_naive_constants_directPK15HIP_vector_typeIfLj2EEPS0_S2_.kd
    .uniform_work_group_size: 1
    .uses_dynamic_stack: false
    .vgpr_count:     32
    .vgpr_spill_count: 0
    .wavefront_size: 64
  - .args:
      - .actual_access:  read_only
        .address_space:  global
        .offset:         0
        .size:           8
        .value_kind:     global_buffer
      - .address_space:  global
        .offset:         8
        .size:           8
        .value_kind:     global_buffer
      - .actual_access:  read_only
        .address_space:  global
        .offset:         16
        .size:           8
        .value_kind:     global_buffer
      - .offset:         24
        .size:           4
        .value_kind:     hidden_block_count_x
      - .offset:         28
        .size:           4
        .value_kind:     hidden_block_count_y
      - .offset:         32
        .size:           4
        .value_kind:     hidden_block_count_z
      - .offset:         36
        .size:           2
        .value_kind:     hidden_group_size_x
      - .offset:         38
        .size:           2
        .value_kind:     hidden_group_size_y
      - .offset:         40
        .size:           2
        .value_kind:     hidden_group_size_z
      - .offset:         42
        .size:           2
        .value_kind:     hidden_remainder_x
      - .offset:         44
        .size:           2
        .value_kind:     hidden_remainder_y
      - .offset:         46
        .size:           2
        .value_kind:     hidden_remainder_z
      - .offset:         64
        .size:           8
        .value_kind:     hidden_global_offset_x
      - .offset:         72
        .size:           8
        .value_kind:     hidden_global_offset_y
      - .offset:         80
        .size:           8
        .value_kind:     hidden_global_offset_z
      - .offset:         88
        .size:           2
        .value_kind:     hidden_grid_dims
    .group_segment_fixed_size: 0
    .kernarg_segment_align: 8
    .kernarg_segment_size: 280
    .language:       OpenCL C
    .language_version:
      - 2
      - 0
    .max_flat_workgroup_size: 1024
    .name:           _Z38comm_aosoa_naive_constants_direct_permPK15HIP_vector_typeIfLj2EEPS0_S2_
    .private_segment_fixed_size: 0
    .sgpr_count:     34
    .sgpr_spill_count: 0
    .symbol:         _Z38comm_aosoa_naive_constants_direct_permPK15HIP_vector_typeIfLj2EEPS0_S2_.kd
    .uniform_work_group_size: 1
    .uses_dynamic_stack: false
    .vgpr_count:     45
    .vgpr_spill_count: 0
    .wavefront_size: 64
  - .args:
      - .actual_access:  read_only
        .address_space:  global
        .offset:         0
        .size:           8
        .value_kind:     global_buffer
      - .address_space:  global
        .offset:         8
        .size:           8
        .value_kind:     global_buffer
      - .actual_access:  read_only
        .address_space:  global
        .offset:         16
        .size:           8
        .value_kind:     global_buffer
      - .offset:         24
        .size:           4
        .value_kind:     by_value
    .group_segment_fixed_size: 0
    .kernarg_segment_align: 8
    .kernarg_segment_size: 28
    .language:       OpenCL C
    .language_version:
      - 2
      - 0
    .max_flat_workgroup_size: 1024
    .name:           _Z10comm_aosoaPK15HIP_vector_typeIfLj2EEPS0_S2_i
    .private_segment_fixed_size: 0
    .sgpr_count:     35
    .sgpr_spill_count: 0
    .symbol:         _Z10comm_aosoaPK15HIP_vector_typeIfLj2EEPS0_S2_i.kd
    .uniform_work_group_size: 1
    .uses_dynamic_stack: false
    .vgpr_count:     22
    .vgpr_spill_count: 0
    .wavefront_size: 64
  - .args:
      - .actual_access:  read_only
        .address_space:  global
        .offset:         0
        .size:           8
        .value_kind:     global_buffer
      - .address_space:  global
        .offset:         8
        .size:           8
        .value_kind:     global_buffer
      - .actual_access:  read_only
        .address_space:  global
        .offset:         16
        .size:           8
        .value_kind:     global_buffer
    .group_segment_fixed_size: 0
    .kernarg_segment_align: 8
    .kernarg_segment_size: 24
    .language:       OpenCL C
    .language_version:
      - 2
      - 0
    .max_flat_workgroup_size: 1024
    .name:           _Z20comm_aosoa_constantsPK15HIP_vector_typeIfLj2EEPS0_S2_
    .private_segment_fixed_size: 0
    .sgpr_count:     34
    .sgpr_spill_count: 0
    .symbol:         _Z20comm_aosoa_constantsPK15HIP_vector_typeIfLj2EEPS0_S2_.kd
    .uniform_work_group_size: 1
    .uses_dynamic_stack: false
    .vgpr_count:     33
    .vgpr_spill_count: 0
    .wavefront_size: 64
  - .args:
      - .actual_access:  read_only
        .address_space:  global
        .offset:         0
        .size:           8
        .value_kind:     global_buffer
      - .address_space:  global
        .offset:         8
        .size:           8
        .value_kind:     global_buffer
      - .actual_access:  read_only
        .address_space:  global
        .offset:         16
        .size:           8
        .value_kind:     global_buffer
    .group_segment_fixed_size: 0
    .kernarg_segment_align: 8
    .kernarg_segment_size: 24
    .language:       OpenCL C
    .language_version:
      - 2
      - 0
    .max_flat_workgroup_size: 1024
    .name:           _Z25comm_aosoa_constants_permPK15HIP_vector_typeIfLj2EEPS0_S2_
    .private_segment_fixed_size: 0
    .sgpr_count:     34
    .sgpr_spill_count: 0
    .symbol:         _Z25comm_aosoa_constants_permPK15HIP_vector_typeIfLj2EEPS0_S2_.kd
    .uniform_work_group_size: 1
    .uses_dynamic_stack: false
    .vgpr_count:     47
    .vgpr_spill_count: 0
    .wavefront_size: 64
  - .args:
      - .actual_access:  read_only
        .address_space:  global
        .offset:         0
        .size:           8
        .value_kind:     global_buffer
      - .address_space:  global
        .offset:         8
        .size:           8
        .value_kind:     global_buffer
      - .actual_access:  read_only
        .address_space:  global
        .offset:         16
        .size:           8
        .value_kind:     global_buffer
      - .offset:         24
        .size:           4
        .value_kind:     by_value
    .group_segment_fixed_size: 0
    .kernarg_segment_align: 8
    .kernarg_segment_size: 28
    .language:       OpenCL C
    .language_version:
      - 2
      - 0
    .max_flat_workgroup_size: 1024
    .name:           _Z17comm_aosoa_directPK15HIP_vector_typeIfLj2EEPS0_S2_i
    .private_segment_fixed_size: 0
    .sgpr_count:     35
    .sgpr_spill_count: 0
    .symbol:         _Z17comm_aosoa_directPK15HIP_vector_typeIfLj2EEPS0_S2_i.kd
    .uniform_work_group_size: 1
    .uses_dynamic_stack: false
    .vgpr_count:     22
    .vgpr_spill_count: 0
    .wavefront_size: 64
  - .args:
      - .actual_access:  read_only
        .address_space:  global
        .offset:         0
        .size:           8
        .value_kind:     global_buffer
      - .address_space:  global
        .offset:         8
        .size:           8
        .value_kind:     global_buffer
      - .actual_access:  read_only
        .address_space:  global
        .offset:         16
        .size:           8
        .value_kind:     global_buffer
    .group_segment_fixed_size: 0
    .kernarg_segment_align: 8
    .kernarg_segment_size: 24
    .language:       OpenCL C
    .language_version:
      - 2
      - 0
    .max_flat_workgroup_size: 1024
    .name:           _Z27comm_aosoa_constants_directPK15HIP_vector_typeIfLj2EEPS0_S2_
    .private_segment_fixed_size: 0
    .sgpr_count:     34
    .sgpr_spill_count: 0
    .symbol:         _Z27comm_aosoa_constants_directPK15HIP_vector_typeIfLj2EEPS0_S2_.kd
    .uniform_work_group_size: 1
    .uses_dynamic_stack: false
    .vgpr_count:     33
    .vgpr_spill_count: 0
    .wavefront_size: 64
  - .args:
      - .actual_access:  read_only
        .address_space:  global
        .offset:         0
        .size:           8
        .value_kind:     global_buffer
      - .address_space:  global
        .offset:         8
        .size:           8
        .value_kind:     global_buffer
      - .actual_access:  read_only
        .address_space:  global
        .offset:         16
        .size:           8
        .value_kind:     global_buffer
    .group_segment_fixed_size: 0
    .kernarg_segment_align: 8
    .kernarg_segment_size: 24
    .language:       OpenCL C
    .language_version:
      - 2
      - 0
    .max_flat_workgroup_size: 1024
    .name:           _Z32comm_aosoa_constants_direct_permPK15HIP_vector_typeIfLj2EEPS0_S2_
    .private_segment_fixed_size: 0
    .sgpr_count:     34
    .sgpr_spill_count: 0
    .symbol:         _Z32comm_aosoa_constants_direct_permPK15HIP_vector_typeIfLj2EEPS0_S2_.kd
    .uniform_work_group_size: 1
    .uses_dynamic_stack: false
    .vgpr_count:     46
    .vgpr_spill_count: 0
    .wavefront_size: 64
  - .args:
      - .actual_access:  read_only
        .address_space:  global
        .offset:         0
        .size:           8
        .value_kind:     global_buffer
      - .address_space:  global
        .offset:         8
        .size:           8
        .value_kind:     global_buffer
      - .actual_access:  read_only
        .address_space:  global
        .offset:         16
        .size:           8
        .value_kind:     global_buffer
      - .offset:         24
        .size:           4
        .value_kind:     by_value
      - .offset:         32
        .size:           4
        .value_kind:     hidden_block_count_x
      - .offset:         36
        .size:           4
        .value_kind:     hidden_block_count_y
      - .offset:         40
        .size:           4
        .value_kind:     hidden_block_count_z
      - .offset:         44
        .size:           2
        .value_kind:     hidden_group_size_x
      - .offset:         46
        .size:           2
        .value_kind:     hidden_group_size_y
      - .offset:         48
        .size:           2
        .value_kind:     hidden_group_size_z
      - .offset:         50
        .size:           2
        .value_kind:     hidden_remainder_x
      - .offset:         52
        .size:           2
        .value_kind:     hidden_remainder_y
      - .offset:         54
        .size:           2
        .value_kind:     hidden_remainder_z
      - .offset:         72
        .size:           8
        .value_kind:     hidden_global_offset_x
      - .offset:         80
        .size:           8
        .value_kind:     hidden_global_offset_y
      - .offset:         88
        .size:           8
        .value_kind:     hidden_global_offset_z
      - .offset:         96
        .size:           2
        .value_kind:     hidden_grid_dims
    .group_segment_fixed_size: 0
    .kernarg_segment_align: 8
    .kernarg_segment_size: 288
    .language:       OpenCL C
    .language_version:
      - 2
      - 0
    .max_flat_workgroup_size: 1024
    .name:           _Z17comm_manual_aosoaPK15HIP_vector_typeIfLj2EEPS0_S2_i
    .private_segment_fixed_size: 0
    .sgpr_count:     38
    .sgpr_spill_count: 0
    .symbol:         _Z17comm_manual_aosoaPK15HIP_vector_typeIfLj2EEPS0_S2_i.kd
    .uniform_work_group_size: 1
    .uses_dynamic_stack: false
    .vgpr_count:     30
    .vgpr_spill_count: 0
    .wavefront_size: 64
  - .args:
      - .actual_access:  read_only
        .address_space:  global
        .offset:         0
        .size:           8
        .value_kind:     global_buffer
      - .address_space:  global
        .offset:         8
        .size:           8
        .value_kind:     global_buffer
      - .actual_access:  read_only
        .address_space:  global
        .offset:         16
        .size:           8
        .value_kind:     global_buffer
      - .offset:         24
        .size:           4
        .value_kind:     hidden_block_count_x
      - .offset:         28
        .size:           4
        .value_kind:     hidden_block_count_y
      - .offset:         32
        .size:           4
        .value_kind:     hidden_block_count_z
      - .offset:         36
        .size:           2
        .value_kind:     hidden_group_size_x
      - .offset:         38
        .size:           2
        .value_kind:     hidden_group_size_y
      - .offset:         40
        .size:           2
        .value_kind:     hidden_group_size_z
      - .offset:         42
        .size:           2
        .value_kind:     hidden_remainder_x
      - .offset:         44
        .size:           2
        .value_kind:     hidden_remainder_y
      - .offset:         46
        .size:           2
        .value_kind:     hidden_remainder_z
      - .offset:         64
        .size:           8
        .value_kind:     hidden_global_offset_x
      - .offset:         72
        .size:           8
        .value_kind:     hidden_global_offset_y
      - .offset:         80
        .size:           8
        .value_kind:     hidden_global_offset_z
      - .offset:         88
        .size:           2
        .value_kind:     hidden_grid_dims
    .group_segment_fixed_size: 0
    .kernarg_segment_align: 8
    .kernarg_segment_size: 280
    .language:       OpenCL C
    .language_version:
      - 2
      - 0
    .max_flat_workgroup_size: 1024
    .name:           _Z27comm_manual_aosoa_constantsPK15HIP_vector_typeIfLj2EEPS0_S2_
    .private_segment_fixed_size: 0
    .sgpr_count:     35
    .sgpr_spill_count: 0
    .symbol:         _Z27comm_manual_aosoa_constantsPK15HIP_vector_typeIfLj2EEPS0_S2_.kd
    .uniform_work_group_size: 1
    .uses_dynamic_stack: false
    .vgpr_count:     36
    .vgpr_spill_count: 0
    .wavefront_size: 64
  - .args:
      - .actual_access:  read_only
        .address_space:  global
        .offset:         0
        .size:           8
        .value_kind:     global_buffer
      - .address_space:  global
        .offset:         8
        .size:           8
        .value_kind:     global_buffer
      - .actual_access:  read_only
        .address_space:  global
        .offset:         16
        .size:           8
        .value_kind:     global_buffer
      - .offset:         24
        .size:           4
        .value_kind:     hidden_block_count_x
      - .offset:         28
        .size:           4
        .value_kind:     hidden_block_count_y
      - .offset:         32
        .size:           4
        .value_kind:     hidden_block_count_z
      - .offset:         36
        .size:           2
        .value_kind:     hidden_group_size_x
      - .offset:         38
        .size:           2
        .value_kind:     hidden_group_size_y
      - .offset:         40
        .size:           2
        .value_kind:     hidden_group_size_z
      - .offset:         42
        .size:           2
        .value_kind:     hidden_remainder_x
      - .offset:         44
        .size:           2
        .value_kind:     hidden_remainder_y
      - .offset:         46
        .size:           2
        .value_kind:     hidden_remainder_z
      - .offset:         64
        .size:           8
        .value_kind:     hidden_global_offset_x
      - .offset:         72
        .size:           8
        .value_kind:     hidden_global_offset_y
      - .offset:         80
        .size:           8
        .value_kind:     hidden_global_offset_z
      - .offset:         88
        .size:           2
        .value_kind:     hidden_grid_dims
    .group_segment_fixed_size: 0
    .kernarg_segment_align: 8
    .kernarg_segment_size: 280
    .language:       OpenCL C
    .language_version:
      - 2
      - 0
    .max_flat_workgroup_size: 1024
    .name:           _Z32comm_manual_aosoa_constants_permPK15HIP_vector_typeIfLj2EEPS0_S2_
    .private_segment_fixed_size: 0
    .sgpr_count:     31
    .sgpr_spill_count: 0
    .symbol:         _Z32comm_manual_aosoa_constants_permPK15HIP_vector_typeIfLj2EEPS0_S2_.kd
    .uniform_work_group_size: 1
    .uses_dynamic_stack: false
    .vgpr_count:     47
    .vgpr_spill_count: 0
    .wavefront_size: 64
  - .args:
      - .actual_access:  read_only
        .address_space:  global
        .offset:         0
        .size:           8
        .value_kind:     global_buffer
      - .address_space:  global
        .offset:         8
        .size:           8
        .value_kind:     global_buffer
      - .actual_access:  read_only
        .address_space:  global
        .offset:         16
        .size:           8
        .value_kind:     global_buffer
      - .offset:         24
        .size:           4
        .value_kind:     hidden_block_count_x
      - .offset:         28
        .size:           4
        .value_kind:     hidden_block_count_y
      - .offset:         32
        .size:           4
        .value_kind:     hidden_block_count_z
      - .offset:         36
        .size:           2
        .value_kind:     hidden_group_size_x
      - .offset:         38
        .size:           2
        .value_kind:     hidden_group_size_y
      - .offset:         40
        .size:           2
        .value_kind:     hidden_group_size_z
      - .offset:         42
        .size:           2
        .value_kind:     hidden_remainder_x
      - .offset:         44
        .size:           2
        .value_kind:     hidden_remainder_y
      - .offset:         46
        .size:           2
        .value_kind:     hidden_remainder_z
      - .offset:         64
        .size:           8
        .value_kind:     hidden_global_offset_x
      - .offset:         72
        .size:           8
        .value_kind:     hidden_global_offset_y
      - .offset:         80
        .size:           8
        .value_kind:     hidden_global_offset_z
      - .offset:         88
        .size:           2
        .value_kind:     hidden_grid_dims
    .group_segment_fixed_size: 0
    .kernarg_segment_align: 8
    .kernarg_segment_size: 280
    .language:       OpenCL C
    .language_version:
      - 2
      - 0
    .max_flat_workgroup_size: 1024
    .name:           _Z41comm_manual_aosoa_constants_perm_prefetchPK15HIP_vector_typeIfLj2EEPS0_S2_
    .private_segment_fixed_size: 0
    .sgpr_count:     35
    .sgpr_spill_count: 0
    .symbol:         _Z41comm_manual_aosoa_constants_perm_prefetchPK15HIP_vector_typeIfLj2EEPS0_S2_.kd
    .uniform_work_group_size: 1
    .uses_dynamic_stack: false
    .vgpr_count:     36
    .vgpr_spill_count: 0
    .wavefront_size: 64
  - .args:
      - .actual_access:  read_only
        .address_space:  global
        .offset:         0
        .size:           8
        .value_kind:     global_buffer
      - .address_space:  global
        .offset:         8
        .size:           8
        .value_kind:     global_buffer
      - .actual_access:  read_only
        .address_space:  global
        .offset:         16
        .size:           8
        .value_kind:     global_buffer
      - .offset:         24
        .size:           4
        .value_kind:     by_value
      - .offset:         32
        .size:           4
        .value_kind:     hidden_block_count_x
      - .offset:         36
        .size:           4
        .value_kind:     hidden_block_count_y
      - .offset:         40
        .size:           4
        .value_kind:     hidden_block_count_z
      - .offset:         44
        .size:           2
        .value_kind:     hidden_group_size_x
      - .offset:         46
        .size:           2
        .value_kind:     hidden_group_size_y
      - .offset:         48
        .size:           2
        .value_kind:     hidden_group_size_z
      - .offset:         50
        .size:           2
        .value_kind:     hidden_remainder_x
      - .offset:         52
        .size:           2
        .value_kind:     hidden_remainder_y
      - .offset:         54
        .size:           2
        .value_kind:     hidden_remainder_z
      - .offset:         72
        .size:           8
        .value_kind:     hidden_global_offset_x
      - .offset:         80
        .size:           8
        .value_kind:     hidden_global_offset_y
      - .offset:         88
        .size:           8
        .value_kind:     hidden_global_offset_z
      - .offset:         96
        .size:           2
        .value_kind:     hidden_grid_dims
    .group_segment_fixed_size: 0
    .kernarg_segment_align: 8
    .kernarg_segment_size: 288
    .language:       OpenCL C
    .language_version:
      - 2
      - 0
    .max_flat_workgroup_size: 1024
    .name:           _Z24comm_manual_aosoa_directPK15HIP_vector_typeIfLj2EEPS0_S2_i
    .private_segment_fixed_size: 0
    .sgpr_count:     36
    .sgpr_spill_count: 0
    .symbol:         _Z24comm_manual_aosoa_directPK15HIP_vector_typeIfLj2EEPS0_S2_i.kd
    .uniform_work_group_size: 1
    .uses_dynamic_stack: false
    .vgpr_count:     37
    .vgpr_spill_count: 0
    .wavefront_size: 64
  - .args:
      - .actual_access:  read_only
        .address_space:  global
        .offset:         0
        .size:           8
        .value_kind:     global_buffer
      - .address_space:  global
        .offset:         8
        .size:           8
        .value_kind:     global_buffer
      - .actual_access:  read_only
        .address_space:  global
        .offset:         16
        .size:           8
        .value_kind:     global_buffer
      - .offset:         24
        .size:           4
        .value_kind:     hidden_block_count_x
      - .offset:         28
        .size:           4
        .value_kind:     hidden_block_count_y
      - .offset:         32
        .size:           4
        .value_kind:     hidden_block_count_z
      - .offset:         36
        .size:           2
        .value_kind:     hidden_group_size_x
      - .offset:         38
        .size:           2
        .value_kind:     hidden_group_size_y
      - .offset:         40
        .size:           2
        .value_kind:     hidden_group_size_z
      - .offset:         42
        .size:           2
        .value_kind:     hidden_remainder_x
      - .offset:         44
        .size:           2
        .value_kind:     hidden_remainder_y
      - .offset:         46
        .size:           2
        .value_kind:     hidden_remainder_z
      - .offset:         64
        .size:           8
        .value_kind:     hidden_global_offset_x
      - .offset:         72
        .size:           8
        .value_kind:     hidden_global_offset_y
      - .offset:         80
        .size:           8
        .value_kind:     hidden_global_offset_z
      - .offset:         88
        .size:           2
        .value_kind:     hidden_grid_dims
    .group_segment_fixed_size: 0
    .kernarg_segment_align: 8
    .kernarg_segment_size: 280
    .language:       OpenCL C
    .language_version:
      - 2
      - 0
    .max_flat_workgroup_size: 1024
    .name:           _Z34comm_manual_aosoa_constants_directPK15HIP_vector_typeIfLj2EEPS0_S2_
    .private_segment_fixed_size: 0
    .sgpr_count:     30
    .sgpr_spill_count: 0
    .symbol:         _Z34comm_manual_aosoa_constants_directPK15HIP_vector_typeIfLj2EEPS0_S2_.kd
    .uniform_work_group_size: 1
    .uses_dynamic_stack: false
    .vgpr_count:     51
    .vgpr_spill_count: 0
    .wavefront_size: 64
  - .args:
      - .actual_access:  read_only
        .address_space:  global
        .offset:         0
        .size:           8
        .value_kind:     global_buffer
      - .address_space:  global
        .offset:         8
        .size:           8
        .value_kind:     global_buffer
      - .actual_access:  read_only
        .address_space:  global
        .offset:         16
        .size:           8
        .value_kind:     global_buffer
      - .offset:         24
        .size:           4
        .value_kind:     hidden_block_count_x
      - .offset:         28
        .size:           4
        .value_kind:     hidden_block_count_y
      - .offset:         32
        .size:           4
        .value_kind:     hidden_block_count_z
      - .offset:         36
        .size:           2
        .value_kind:     hidden_group_size_x
      - .offset:         38
        .size:           2
        .value_kind:     hidden_group_size_y
      - .offset:         40
        .size:           2
        .value_kind:     hidden_group_size_z
      - .offset:         42
        .size:           2
        .value_kind:     hidden_remainder_x
      - .offset:         44
        .size:           2
        .value_kind:     hidden_remainder_y
      - .offset:         46
        .size:           2
        .value_kind:     hidden_remainder_z
      - .offset:         64
        .size:           8
        .value_kind:     hidden_global_offset_x
      - .offset:         72
        .size:           8
        .value_kind:     hidden_global_offset_y
      - .offset:         80
        .size:           8
        .value_kind:     hidden_global_offset_z
      - .offset:         88
        .size:           2
        .value_kind:     hidden_grid_dims
    .group_segment_fixed_size: 0
    .kernarg_segment_align: 8
    .kernarg_segment_size: 280
    .language:       OpenCL C
    .language_version:
      - 2
      - 0
    .max_flat_workgroup_size: 1024
    .name:           _Z43comm_manual_aosoa_constants_direct_prefetchPK15HIP_vector_typeIfLj2EEPS0_S2_
    .private_segment_fixed_size: 0
    .sgpr_count:     30
    .sgpr_spill_count: 0
    .symbol:         _Z43comm_manual_aosoa_constants_direct_prefetchPK15HIP_vector_typeIfLj2EEPS0_S2_.kd
    .uniform_work_group_size: 1
    .uses_dynamic_stack: false
    .vgpr_count:     51
    .vgpr_spill_count: 0
    .wavefront_size: 64
  - .args:
      - .actual_access:  read_only
        .address_space:  global
        .offset:         0
        .size:           8
        .value_kind:     global_buffer
      - .address_space:  global
        .offset:         8
        .size:           8
        .value_kind:     global_buffer
      - .actual_access:  read_only
        .address_space:  global
        .offset:         16
        .size:           8
        .value_kind:     global_buffer
      - .offset:         24
        .size:           4
        .value_kind:     hidden_block_count_x
      - .offset:         28
        .size:           4
        .value_kind:     hidden_block_count_y
      - .offset:         32
        .size:           4
        .value_kind:     hidden_block_count_z
      - .offset:         36
        .size:           2
        .value_kind:     hidden_group_size_x
      - .offset:         38
        .size:           2
        .value_kind:     hidden_group_size_y
      - .offset:         40
        .size:           2
        .value_kind:     hidden_group_size_z
      - .offset:         42
        .size:           2
        .value_kind:     hidden_remainder_x
      - .offset:         44
        .size:           2
        .value_kind:     hidden_remainder_y
      - .offset:         46
        .size:           2
        .value_kind:     hidden_remainder_z
      - .offset:         64
        .size:           8
        .value_kind:     hidden_global_offset_x
      - .offset:         72
        .size:           8
        .value_kind:     hidden_global_offset_y
      - .offset:         80
        .size:           8
        .value_kind:     hidden_global_offset_z
      - .offset:         88
        .size:           2
        .value_kind:     hidden_grid_dims
    .group_segment_fixed_size: 0
    .kernarg_segment_align: 8
    .kernarg_segment_size: 280
    .language:       OpenCL C
    .language_version:
      - 2
      - 0
    .max_flat_workgroup_size: 1024
    .name:           _Z39comm_manual_aosoa_constants_direct_permPK15HIP_vector_typeIfLj2EEPS0_S2_
    .private_segment_fixed_size: 0
    .sgpr_count:     31
    .sgpr_spill_count: 0
    .symbol:         _Z39comm_manual_aosoa_constants_direct_permPK15HIP_vector_typeIfLj2EEPS0_S2_.kd
    .uniform_work_group_size: 1
    .uses_dynamic_stack: false
    .vgpr_count:     47
    .vgpr_spill_count: 0
    .wavefront_size: 64
  - .args:
      - .actual_access:  read_only
        .address_space:  global
        .offset:         0
        .size:           8
        .value_kind:     global_buffer
      - .address_space:  global
        .offset:         8
        .size:           8
        .value_kind:     global_buffer
      - .actual_access:  read_only
        .address_space:  global
        .offset:         16
        .size:           8
        .value_kind:     global_buffer
      - .offset:         24
        .size:           4
        .value_kind:     by_value
    .group_segment_fixed_size: 1972
    .kernarg_segment_align: 8
    .kernarg_segment_size: 28
    .language:       OpenCL C
    .language_version:
      - 2
      - 0
    .max_flat_workgroup_size: 1024
    .name:           _Z16final_gpu_kernelPK15HIP_vector_typeIfLj2EEPS0_S2_i
    .private_segment_fixed_size: 0
    .sgpr_count:     16
    .sgpr_spill_count: 0
    .symbol:         _Z16final_gpu_kernelPK15HIP_vector_typeIfLj2EEPS0_S2_i.kd
    .uniform_work_group_size: 1
    .uses_dynamic_stack: false
    .vgpr_count:     41
    .vgpr_spill_count: 0
    .wavefront_size: 64
amdhsa.target:   amdgcn-amd-amdhsa--gfx906
amdhsa.version:
  - 1
  - 2
...

	.end_amdgpu_metadata
